;; amdgpu-corpus repo=pytorch/pytorch kind=compiled arch=gfx906 opt=O3
	.amdgcn_target "amdgcn-amd-amdhsa--gfx906"
	.amdhsa_code_object_version 6
	.section	.text._ZN2at6native12_GLOBAL__N_132weight_norm_fwd_first_dim_kernelIddEEvPT_PT0_PKS3_S8_i,"axG",@progbits,_ZN2at6native12_GLOBAL__N_132weight_norm_fwd_first_dim_kernelIddEEvPT_PT0_PKS3_S8_i,comdat
	.globl	_ZN2at6native12_GLOBAL__N_132weight_norm_fwd_first_dim_kernelIddEEvPT_PT0_PKS3_S8_i ; -- Begin function _ZN2at6native12_GLOBAL__N_132weight_norm_fwd_first_dim_kernelIddEEvPT_PT0_PKS3_S8_i
	.p2align	8
	.type	_ZN2at6native12_GLOBAL__N_132weight_norm_fwd_first_dim_kernelIddEEvPT_PT0_PKS3_S8_i,@function
_ZN2at6native12_GLOBAL__N_132weight_norm_fwd_first_dim_kernelIddEEvPT_PT0_PKS3_S8_i: ; @_ZN2at6native12_GLOBAL__N_132weight_norm_fwd_first_dim_kernelIddEEvPT_PT0_PKS3_S8_i
; %bb.0:
	s_load_dword s0, s[4:5], 0x34
	s_load_dword s20, s[4:5], 0x20
	s_load_dwordx8 s[8:15], s[4:5], 0x0
	s_add_u32 s4, s4, 40
	v_mov_b32_e32 v4, 0
	s_addc_u32 s5, s5, 0
	s_waitcnt lgkmcnt(0)
	s_mul_i32 s2, s20, s6
	v_add_u32_e32 v2, s2, v0
	s_and_b32 s21, s0, 0xffff
	v_cmp_gt_i32_e64 s[0:1], s20, v0
	v_mov_b32_e32 v5, 0
	v_ashrrev_i32_e32 v3, 31, v2
	s_and_saveexec_b64 s[16:17], s[0:1]
	s_cbranch_execz .LBB0_4
; %bb.1:
	v_lshlrev_b64 v[4:5], 3, v[2:3]
	v_mov_b32_e32 v7, s13
	v_add_co_u32_e32 v6, vcc, s12, v4
	v_addc_co_u32_e32 v7, vcc, v7, v5, vcc
	v_mov_b32_e32 v4, 0
	s_lshl_b32 s7, s21, 3
	v_mov_b32_e32 v5, 0
	s_mov_b64 s[18:19], 0
	v_mov_b32_e32 v8, v0
.LBB0_2:                                ; =>This Inner Loop Header: Depth=1
	global_load_dwordx2 v[9:10], v[6:7], off
	v_add_u32_e32 v8, s21, v8
	v_add_co_u32_e32 v6, vcc, s7, v6
	v_cmp_le_i32_e64 s[2:3], s20, v8
	s_or_b64 s[18:19], s[2:3], s[18:19]
	v_addc_co_u32_e32 v7, vcc, 0, v7, vcc
	s_waitcnt vmcnt(0)
	v_fma_f64 v[4:5], v[9:10], v[9:10], v[4:5]
	s_andn2_b64 exec, exec, s[18:19]
	s_cbranch_execnz .LBB0_2
; %bb.3:
	s_or_b64 exec, exec, s[18:19]
.LBB0_4:
	s_or_b64 exec, exec, s[16:17]
	s_load_dword s2, s[4:5], 0xc
	v_mad_u32_u24 v1, v1, s21, v0
	s_waitcnt lgkmcnt(0)
	s_lshr_b32 s2, s2, 16
	s_mul_i32 s2, s2, s21
	s_cmp_gt_i32 s2, 63
	s_cselect_b64 s[4:5], -1, 0
	s_cmp_lt_i32 s2, 64
	s_cbranch_scc1 .LBB0_6
; %bb.5:
	v_lshl_add_u32 v6, v1, 3, 0
	ds_write_b64 v6, v[4:5]
	s_waitcnt lgkmcnt(0)
	s_barrier
.LBB0_6:
	s_ashr_i32 s7, s2, 1
	s_cmp_lt_i32 s7, 64
	s_cbranch_scc1 .LBB0_11
; %bb.7:
	v_lshl_add_u32 v6, v1, 3, 0
	s_branch .LBB0_9
.LBB0_8:                                ;   in Loop: Header=BB0_9 Depth=1
	s_or_b64 exec, exec, s[2:3]
	s_lshr_b32 s2, s7, 1
	s_cmpk_lt_u32 s7, 0x80
	s_mov_b32 s7, s2
	s_waitcnt lgkmcnt(0)
	s_barrier
	s_cbranch_scc1 .LBB0_11
.LBB0_9:                                ; =>This Inner Loop Header: Depth=1
	v_cmp_gt_i32_e32 vcc, s7, v1
	s_and_saveexec_b64 s[2:3], vcc
	s_cbranch_execz .LBB0_8
; %bb.10:                               ;   in Loop: Header=BB0_9 Depth=1
	v_lshl_add_u32 v9, s7, 3, v6
	ds_read_b64 v[7:8], v6
	ds_read_b64 v[9:10], v9
	s_waitcnt lgkmcnt(0)
	v_add_f64 v[7:8], v[7:8], v[9:10]
	ds_write_b64 v6, v[7:8]
	s_branch .LBB0_8
.LBB0_11:
	v_cmp_gt_u32_e32 vcc, 32, v1
	s_and_saveexec_b64 s[2:3], vcc
	s_cbranch_execz .LBB0_16
; %bb.12:
	s_andn2_b64 vcc, exec, s[4:5]
	s_cbranch_vccnz .LBB0_14
; %bb.13:
	v_lshl_add_u32 v4, v1, 3, 0
	ds_read2_b64 v[4:7], v4 offset1:32
	s_waitcnt lgkmcnt(0)
	v_add_f64 v[4:5], v[4:5], v[6:7]
.LBB0_14:
	v_mbcnt_lo_u32_b32 v6, -1, 0
	v_mbcnt_hi_u32_b32 v8, -1, v6
	v_and_b32_e32 v9, 63, v8
	v_cmp_gt_u32_e32 vcc, 48, v9
	v_cndmask_b32_e64 v6, 0, 16, vcc
	v_add_lshl_u32 v7, v6, v8, 2
	ds_bpermute_b32 v6, v7, v4
	ds_bpermute_b32 v7, v7, v5
	v_cmp_gt_u32_e32 vcc, 56, v9
	s_waitcnt lgkmcnt(0)
	v_add_f64 v[4:5], v[4:5], v[6:7]
	v_cndmask_b32_e64 v6, 0, 8, vcc
	v_add_lshl_u32 v7, v6, v8, 2
	v_cmp_gt_u32_e32 vcc, 60, v9
	ds_bpermute_b32 v6, v7, v4
	ds_bpermute_b32 v7, v7, v5
	s_waitcnt lgkmcnt(0)
	v_add_f64 v[4:5], v[4:5], v[6:7]
	v_cndmask_b32_e64 v6, 0, 4, vcc
	v_add_lshl_u32 v7, v6, v8, 2
	v_cmp_gt_u32_e32 vcc, 62, v9
	ds_bpermute_b32 v6, v7, v4
	ds_bpermute_b32 v7, v7, v5
	s_waitcnt lgkmcnt(0)
	v_add_f64 v[4:5], v[4:5], v[6:7]
	v_cndmask_b32_e64 v6, 0, 2, vcc
	v_add_lshl_u32 v7, v6, v8, 2
	v_cmp_ne_u32_e32 vcc, 63, v9
	ds_bpermute_b32 v6, v7, v4
	ds_bpermute_b32 v7, v7, v5
	s_waitcnt lgkmcnt(0)
	v_add_f64 v[4:5], v[4:5], v[6:7]
	v_addc_co_u32_e32 v6, vcc, 0, v8, vcc
	v_lshlrev_b32_e32 v7, 2, v6
	v_cmp_eq_u32_e32 vcc, 0, v1
	ds_bpermute_b32 v6, v7, v4
	ds_bpermute_b32 v7, v7, v5
	s_and_b64 exec, exec, vcc
	s_cbranch_execz .LBB0_16
; %bb.15:
	s_waitcnt lgkmcnt(0)
	v_add_f64 v[4:5], v[4:5], v[6:7]
	v_mov_b32_e32 v1, 0
	ds_write_b64 v1, v[4:5]
.LBB0_16:
	s_or_b64 exec, exec, s[2:3]
	v_mov_b32_e32 v1, 0
	s_waitcnt lgkmcnt(0)
	s_barrier
	ds_read_b64 v[4:5], v1
	s_mov_b32 s2, 0xf800000
	v_mov_b32_e32 v6, 0x260
	s_ashr_i32 s7, s6, 31
	s_waitcnt lgkmcnt(0)
	v_cvt_f32_f64_e32 v4, v[4:5]
	v_mul_f32_e32 v5, 0x4f800000, v4
	v_cmp_gt_f32_e32 vcc, s2, v4
	v_cndmask_b32_e32 v4, v4, v5, vcc
	v_sqrt_f32_e32 v5, v4
	v_add_u32_e32 v7, -1, v5
	v_add_u32_e32 v8, 1, v5
	v_fma_f32 v9, -v7, v5, v4
	v_fma_f32 v10, -v8, v5, v4
	v_cmp_ge_f32_e64 s[2:3], 0, v9
	v_cndmask_b32_e64 v5, v5, v7, s[2:3]
	v_cmp_lt_f32_e64 s[2:3], 0, v10
	v_cndmask_b32_e64 v5, v5, v8, s[2:3]
	v_mul_f32_e32 v7, 0x37800000, v5
	v_cndmask_b32_e32 v5, v5, v7, vcc
	v_cmp_class_f32_e32 vcc, v4, v6
	v_cndmask_b32_e32 v4, v5, v4, vcc
	v_cvt_f64_f32_e32 v[4:5], v4
	v_cmp_eq_u32_e32 vcc, 0, v0
	s_and_saveexec_b64 s[2:3], vcc
	s_cbranch_execz .LBB0_18
; %bb.17:
	s_lshl_b64 s[4:5], s[6:7], 3
	s_add_u32 s4, s10, s4
	s_addc_u32 s5, s11, s5
	global_store_dwordx2 v1, v[4:5], s[4:5]
.LBB0_18:
	s_or_b64 exec, exec, s[2:3]
	s_and_saveexec_b64 s[2:3], s[0:1]
	s_cbranch_execz .LBB0_21
; %bb.19:
	v_div_scale_f64 v[6:7], s[0:1], v[4:5], v[4:5], 1.0
	v_div_scale_f64 v[12:13], vcc, 1.0, v[4:5], 1.0
	s_lshl_b64 s[0:1], s[6:7], 3
	s_add_u32 s0, s14, s0
	s_addc_u32 s1, s15, s1
	s_load_dwordx2 s[0:1], s[0:1], 0x0
	v_lshlrev_b64 v[1:2], 3, v[2:3]
	s_lshl_b32 s4, s21, 3
	s_mov_b64 s[2:3], 0
	v_mov_b32_e32 v3, s13
	v_rcp_f64_e32 v[8:9], v[6:7]
	v_fma_f64 v[10:11], -v[6:7], v[8:9], 1.0
	v_fma_f64 v[8:9], v[8:9], v[10:11], v[8:9]
	v_fma_f64 v[10:11], -v[6:7], v[8:9], 1.0
	v_fma_f64 v[8:9], v[8:9], v[10:11], v[8:9]
	v_mul_f64 v[10:11], v[12:13], v[8:9]
	v_fma_f64 v[6:7], -v[6:7], v[10:11], v[12:13]
	v_div_fmas_f64 v[6:7], v[6:7], v[8:9], v[10:11]
	v_div_fixup_f64 v[4:5], v[6:7], v[4:5], 1.0
	v_mov_b32_e32 v6, s9
.LBB0_20:                               ; =>This Inner Loop Header: Depth=1
	v_add_co_u32_e32 v7, vcc, s12, v1
	v_addc_co_u32_e32 v8, vcc, v3, v2, vcc
	global_load_dwordx2 v[7:8], v[7:8], off
	v_add_co_u32_e32 v9, vcc, s8, v1
	v_addc_co_u32_e32 v10, vcc, v6, v2, vcc
	v_add_co_u32_e32 v1, vcc, s4, v1
	v_add_u32_e32 v0, s21, v0
	v_addc_co_u32_e32 v2, vcc, 0, v2, vcc
	v_cmp_le_i32_e32 vcc, s20, v0
	s_or_b64 s[2:3], vcc, s[2:3]
	s_waitcnt vmcnt(0) lgkmcnt(0)
	v_mul_f64 v[7:8], s[0:1], v[7:8]
	v_mul_f64 v[7:8], v[4:5], v[7:8]
	global_store_dwordx2 v[9:10], v[7:8], off
	s_andn2_b64 exec, exec, s[2:3]
	s_cbranch_execnz .LBB0_20
.LBB0_21:
	s_endpgm
	.section	.rodata,"a",@progbits
	.p2align	6, 0x0
	.amdhsa_kernel _ZN2at6native12_GLOBAL__N_132weight_norm_fwd_first_dim_kernelIddEEvPT_PT0_PKS3_S8_i
		.amdhsa_group_segment_fixed_size 0
		.amdhsa_private_segment_fixed_size 0
		.amdhsa_kernarg_size 296
		.amdhsa_user_sgpr_count 6
		.amdhsa_user_sgpr_private_segment_buffer 1
		.amdhsa_user_sgpr_dispatch_ptr 0
		.amdhsa_user_sgpr_queue_ptr 0
		.amdhsa_user_sgpr_kernarg_segment_ptr 1
		.amdhsa_user_sgpr_dispatch_id 0
		.amdhsa_user_sgpr_flat_scratch_init 0
		.amdhsa_user_sgpr_private_segment_size 0
		.amdhsa_uses_dynamic_stack 0
		.amdhsa_system_sgpr_private_segment_wavefront_offset 0
		.amdhsa_system_sgpr_workgroup_id_x 1
		.amdhsa_system_sgpr_workgroup_id_y 0
		.amdhsa_system_sgpr_workgroup_id_z 0
		.amdhsa_system_sgpr_workgroup_info 0
		.amdhsa_system_vgpr_workitem_id 1
		.amdhsa_next_free_vgpr 14
		.amdhsa_next_free_sgpr 22
		.amdhsa_reserve_vcc 1
		.amdhsa_reserve_flat_scratch 0
		.amdhsa_float_round_mode_32 0
		.amdhsa_float_round_mode_16_64 0
		.amdhsa_float_denorm_mode_32 3
		.amdhsa_float_denorm_mode_16_64 3
		.amdhsa_dx10_clamp 1
		.amdhsa_ieee_mode 1
		.amdhsa_fp16_overflow 0
		.amdhsa_exception_fp_ieee_invalid_op 0
		.amdhsa_exception_fp_denorm_src 0
		.amdhsa_exception_fp_ieee_div_zero 0
		.amdhsa_exception_fp_ieee_overflow 0
		.amdhsa_exception_fp_ieee_underflow 0
		.amdhsa_exception_fp_ieee_inexact 0
		.amdhsa_exception_int_div_zero 0
	.end_amdhsa_kernel
	.section	.text._ZN2at6native12_GLOBAL__N_132weight_norm_fwd_first_dim_kernelIddEEvPT_PT0_PKS3_S8_i,"axG",@progbits,_ZN2at6native12_GLOBAL__N_132weight_norm_fwd_first_dim_kernelIddEEvPT_PT0_PKS3_S8_i,comdat
.Lfunc_end0:
	.size	_ZN2at6native12_GLOBAL__N_132weight_norm_fwd_first_dim_kernelIddEEvPT_PT0_PKS3_S8_i, .Lfunc_end0-_ZN2at6native12_GLOBAL__N_132weight_norm_fwd_first_dim_kernelIddEEvPT_PT0_PKS3_S8_i
                                        ; -- End function
	.set _ZN2at6native12_GLOBAL__N_132weight_norm_fwd_first_dim_kernelIddEEvPT_PT0_PKS3_S8_i.num_vgpr, 14
	.set _ZN2at6native12_GLOBAL__N_132weight_norm_fwd_first_dim_kernelIddEEvPT_PT0_PKS3_S8_i.num_agpr, 0
	.set _ZN2at6native12_GLOBAL__N_132weight_norm_fwd_first_dim_kernelIddEEvPT_PT0_PKS3_S8_i.numbered_sgpr, 22
	.set _ZN2at6native12_GLOBAL__N_132weight_norm_fwd_first_dim_kernelIddEEvPT_PT0_PKS3_S8_i.num_named_barrier, 0
	.set _ZN2at6native12_GLOBAL__N_132weight_norm_fwd_first_dim_kernelIddEEvPT_PT0_PKS3_S8_i.private_seg_size, 0
	.set _ZN2at6native12_GLOBAL__N_132weight_norm_fwd_first_dim_kernelIddEEvPT_PT0_PKS3_S8_i.uses_vcc, 1
	.set _ZN2at6native12_GLOBAL__N_132weight_norm_fwd_first_dim_kernelIddEEvPT_PT0_PKS3_S8_i.uses_flat_scratch, 0
	.set _ZN2at6native12_GLOBAL__N_132weight_norm_fwd_first_dim_kernelIddEEvPT_PT0_PKS3_S8_i.has_dyn_sized_stack, 0
	.set _ZN2at6native12_GLOBAL__N_132weight_norm_fwd_first_dim_kernelIddEEvPT_PT0_PKS3_S8_i.has_recursion, 0
	.set _ZN2at6native12_GLOBAL__N_132weight_norm_fwd_first_dim_kernelIddEEvPT_PT0_PKS3_S8_i.has_indirect_call, 0
	.section	.AMDGPU.csdata,"",@progbits
; Kernel info:
; codeLenInByte = 1092
; TotalNumSgprs: 26
; NumVgprs: 14
; ScratchSize: 0
; MemoryBound: 0
; FloatMode: 240
; IeeeMode: 1
; LDSByteSize: 0 bytes/workgroup (compile time only)
; SGPRBlocks: 3
; VGPRBlocks: 3
; NumSGPRsForWavesPerEU: 26
; NumVGPRsForWavesPerEU: 14
; Occupancy: 10
; WaveLimiterHint : 0
; COMPUTE_PGM_RSRC2:SCRATCH_EN: 0
; COMPUTE_PGM_RSRC2:USER_SGPR: 6
; COMPUTE_PGM_RSRC2:TRAP_HANDLER: 0
; COMPUTE_PGM_RSRC2:TGID_X_EN: 1
; COMPUTE_PGM_RSRC2:TGID_Y_EN: 0
; COMPUTE_PGM_RSRC2:TGID_Z_EN: 0
; COMPUTE_PGM_RSRC2:TIDIG_COMP_CNT: 1
	.section	.text._ZN2at6native12_GLOBAL__N_132weight_norm_fwd_first_dim_kernelIffEEvPT_PT0_PKS3_S8_i,"axG",@progbits,_ZN2at6native12_GLOBAL__N_132weight_norm_fwd_first_dim_kernelIffEEvPT_PT0_PKS3_S8_i,comdat
	.globl	_ZN2at6native12_GLOBAL__N_132weight_norm_fwd_first_dim_kernelIffEEvPT_PT0_PKS3_S8_i ; -- Begin function _ZN2at6native12_GLOBAL__N_132weight_norm_fwd_first_dim_kernelIffEEvPT_PT0_PKS3_S8_i
	.p2align	8
	.type	_ZN2at6native12_GLOBAL__N_132weight_norm_fwd_first_dim_kernelIffEEvPT_PT0_PKS3_S8_i,@function
_ZN2at6native12_GLOBAL__N_132weight_norm_fwd_first_dim_kernelIffEEvPT_PT0_PKS3_S8_i: ; @_ZN2at6native12_GLOBAL__N_132weight_norm_fwd_first_dim_kernelIffEEvPT_PT0_PKS3_S8_i
; %bb.0:
	s_load_dword s0, s[4:5], 0x34
	s_load_dword s18, s[4:5], 0x20
	s_load_dwordx8 s[8:15], s[4:5], 0x0
	s_add_u32 s2, s4, 40
	s_addc_u32 s3, s5, 0
	s_waitcnt lgkmcnt(0)
	s_and_b32 s19, s0, 0xffff
	s_mul_i32 s4, s18, s6
	v_add_u32_e32 v2, s4, v0
	v_cmp_gt_i32_e64 s[0:1], s18, v0
	v_mov_b32_e32 v6, 0
	v_ashrrev_i32_e32 v3, 31, v2
	s_and_saveexec_b64 s[4:5], s[0:1]
	s_cbranch_execz .LBB1_4
; %bb.1:
	v_lshlrev_b64 v[4:5], 2, v[2:3]
	v_mov_b32_e32 v6, s13
	v_add_co_u32_e32 v4, vcc, s12, v4
	v_addc_co_u32_e32 v5, vcc, v6, v5, vcc
	s_lshl_b32 s7, s19, 2
	v_mov_b32_e32 v6, 0
	s_mov_b64 s[16:17], 0
	v_mov_b32_e32 v7, v0
.LBB1_2:                                ; =>This Inner Loop Header: Depth=1
	global_load_dword v8, v[4:5], off
	v_add_co_u32_e32 v4, vcc, s7, v4
	v_add_u32_e32 v7, s19, v7
	v_addc_co_u32_e32 v5, vcc, 0, v5, vcc
	v_cmp_le_i32_e32 vcc, s18, v7
	s_or_b64 s[16:17], vcc, s[16:17]
	s_waitcnt vmcnt(0)
	v_fmac_f32_e32 v6, v8, v8
	s_andn2_b64 exec, exec, s[16:17]
	s_cbranch_execnz .LBB1_2
; %bb.3:
	s_or_b64 exec, exec, s[16:17]
.LBB1_4:
	s_or_b64 exec, exec, s[4:5]
	s_load_dword s2, s[2:3], 0xc
	v_mad_u32_u24 v1, v1, s19, v0
	s_waitcnt lgkmcnt(0)
	s_lshr_b32 s2, s2, 16
	s_mul_i32 s2, s2, s19
	s_cmp_gt_i32 s2, 63
	s_cselect_b64 s[4:5], -1, 0
	s_cmp_lt_i32 s2, 64
	s_cbranch_scc1 .LBB1_6
; %bb.5:
	v_lshl_add_u32 v4, v1, 2, 0
	ds_write_b32 v4, v6
	s_waitcnt lgkmcnt(0)
	s_barrier
.LBB1_6:
	s_ashr_i32 s7, s2, 1
	s_cmp_lt_i32 s7, 64
	s_cbranch_scc1 .LBB1_11
; %bb.7:
	v_lshl_add_u32 v4, v1, 2, 0
	s_branch .LBB1_9
.LBB1_8:                                ;   in Loop: Header=BB1_9 Depth=1
	s_or_b64 exec, exec, s[2:3]
	s_lshr_b32 s2, s7, 1
	s_cmpk_lt_u32 s7, 0x80
	s_mov_b32 s7, s2
	s_waitcnt lgkmcnt(0)
	s_barrier
	s_cbranch_scc1 .LBB1_11
.LBB1_9:                                ; =>This Inner Loop Header: Depth=1
	v_cmp_gt_i32_e32 vcc, s7, v1
	s_and_saveexec_b64 s[2:3], vcc
	s_cbranch_execz .LBB1_8
; %bb.10:                               ;   in Loop: Header=BB1_9 Depth=1
	v_lshl_add_u32 v5, s7, 2, v4
	ds_read_b32 v7, v4
	ds_read_b32 v5, v5
	s_waitcnt lgkmcnt(0)
	v_add_f32_e32 v5, v7, v5
	ds_write_b32 v4, v5
	s_branch .LBB1_8
.LBB1_11:
	v_cmp_gt_u32_e32 vcc, 32, v1
	s_and_saveexec_b64 s[2:3], vcc
	s_cbranch_execz .LBB1_16
; %bb.12:
	s_andn2_b64 vcc, exec, s[4:5]
	s_cbranch_vccnz .LBB1_14
; %bb.13:
	v_lshl_add_u32 v4, v1, 2, 0
	ds_read2_b32 v[4:5], v4 offset1:32
	s_waitcnt lgkmcnt(0)
	v_add_f32_e32 v6, v4, v5
.LBB1_14:
	v_mbcnt_lo_u32_b32 v4, -1, 0
	v_mbcnt_hi_u32_b32 v4, -1, v4
	v_and_b32_e32 v5, 63, v4
	v_cmp_gt_u32_e32 vcc, 48, v5
	v_cndmask_b32_e64 v7, 0, 16, vcc
	v_add_lshl_u32 v7, v7, v4, 2
	ds_bpermute_b32 v7, v7, v6
	v_cmp_gt_u32_e32 vcc, 56, v5
	v_cndmask_b32_e64 v8, 0, 8, vcc
	v_add_lshl_u32 v8, v8, v4, 2
	v_cmp_gt_u32_e32 vcc, 60, v5
	s_waitcnt lgkmcnt(0)
	v_add_f32_e32 v6, v6, v7
	ds_bpermute_b32 v7, v8, v6
	v_cndmask_b32_e64 v8, 0, 4, vcc
	v_add_lshl_u32 v8, v8, v4, 2
	v_cmp_gt_u32_e32 vcc, 62, v5
	s_waitcnt lgkmcnt(0)
	v_add_f32_e32 v6, v6, v7
	ds_bpermute_b32 v7, v8, v6
	v_cndmask_b32_e64 v8, 0, 2, vcc
	v_add_lshl_u32 v8, v8, v4, 2
	v_cmp_ne_u32_e32 vcc, 63, v5
	v_addc_co_u32_e32 v5, vcc, 0, v4, vcc
	s_waitcnt lgkmcnt(0)
	v_add_f32_e32 v6, v6, v7
	ds_bpermute_b32 v7, v8, v6
	v_lshlrev_b32_e32 v5, 2, v5
	v_cmp_eq_u32_e32 vcc, 0, v1
	s_waitcnt lgkmcnt(0)
	v_add_f32_e32 v4, v6, v7
	ds_bpermute_b32 v5, v5, v4
	s_and_b64 exec, exec, vcc
	s_cbranch_execz .LBB1_16
; %bb.15:
	s_waitcnt lgkmcnt(0)
	v_add_f32_e32 v1, v4, v5
	v_mov_b32_e32 v4, 0
	ds_write_b32 v4, v1
.LBB1_16:
	s_or_b64 exec, exec, s[2:3]
	v_mov_b32_e32 v1, 0
	s_waitcnt lgkmcnt(0)
	s_barrier
	ds_read_b32 v4, v1
	s_mov_b32 s2, 0xf800000
	s_ashr_i32 s7, s6, 31
	s_waitcnt lgkmcnt(0)
	v_mul_f32_e32 v5, 0x4f800000, v4
	v_cmp_gt_f32_e32 vcc, s2, v4
	v_cndmask_b32_e32 v4, v4, v5, vcc
	v_sqrt_f32_e32 v5, v4
	v_add_u32_e32 v6, -1, v5
	v_fma_f32 v8, -v6, v5, v4
	v_add_u32_e32 v7, 1, v5
	v_cmp_ge_f32_e64 s[2:3], 0, v8
	v_cndmask_b32_e64 v6, v5, v6, s[2:3]
	v_fma_f32 v5, -v7, v5, v4
	v_cmp_lt_f32_e64 s[2:3], 0, v5
	v_cndmask_b32_e64 v5, v6, v7, s[2:3]
	v_mul_f32_e32 v6, 0x37800000, v5
	v_cndmask_b32_e32 v5, v5, v6, vcc
	v_mov_b32_e32 v6, 0x260
	v_cmp_class_f32_e32 vcc, v4, v6
	v_cndmask_b32_e32 v4, v5, v4, vcc
	v_cmp_eq_u32_e32 vcc, 0, v0
	s_and_saveexec_b64 s[2:3], vcc
	s_cbranch_execz .LBB1_18
; %bb.17:
	s_lshl_b64 s[4:5], s[6:7], 2
	s_add_u32 s4, s10, s4
	s_addc_u32 s5, s11, s5
	global_store_dword v1, v4, s[4:5]
.LBB1_18:
	s_or_b64 exec, exec, s[2:3]
	s_and_saveexec_b64 s[2:3], s[0:1]
	s_cbranch_execz .LBB1_21
; %bb.19:
	v_div_scale_f32 v1, s[0:1], v4, v4, 1.0
	v_div_scale_f32 v5, vcc, 1.0, v4, 1.0
	s_lshl_b64 s[2:3], s[6:7], 2
	s_add_u32 s2, s14, s2
	s_addc_u32 s3, s15, s3
	s_load_dword s2, s[2:3], 0x0
	s_mov_b64 s[0:1], 0
	s_lshl_b32 s3, s19, 2
	v_rcp_f32_e32 v6, v1
	v_fma_f32 v7, -v1, v6, 1.0
	v_fmac_f32_e32 v6, v7, v6
	v_mul_f32_e32 v7, v5, v6
	v_fma_f32 v8, -v1, v7, v5
	v_fmac_f32_e32 v7, v8, v6
	v_fma_f32 v1, -v1, v7, v5
	v_div_fmas_f32 v5, v1, v6, v7
	v_lshlrev_b64 v[1:2], 2, v[2:3]
	v_mov_b32_e32 v3, s13
	v_div_fixup_f32 v4, v5, v4, 1.0
	v_mov_b32_e32 v5, s9
.LBB1_20:                               ; =>This Inner Loop Header: Depth=1
	v_add_co_u32_e32 v6, vcc, s12, v1
	v_addc_co_u32_e32 v7, vcc, v3, v2, vcc
	global_load_dword v8, v[6:7], off
	v_add_co_u32_e32 v6, vcc, s8, v1
	v_addc_co_u32_e32 v7, vcc, v5, v2, vcc
	v_add_co_u32_e32 v1, vcc, s3, v1
	v_add_u32_e32 v0, s19, v0
	v_addc_co_u32_e32 v2, vcc, 0, v2, vcc
	v_cmp_le_i32_e32 vcc, s18, v0
	s_or_b64 s[0:1], vcc, s[0:1]
	s_waitcnt vmcnt(0) lgkmcnt(0)
	v_mul_f32_e32 v8, s2, v8
	v_mul_f32_e32 v8, v4, v8
	global_store_dword v[6:7], v8, off
	s_andn2_b64 exec, exec, s[0:1]
	s_cbranch_execnz .LBB1_20
.LBB1_21:
	s_endpgm
	.section	.rodata,"a",@progbits
	.p2align	6, 0x0
	.amdhsa_kernel _ZN2at6native12_GLOBAL__N_132weight_norm_fwd_first_dim_kernelIffEEvPT_PT0_PKS3_S8_i
		.amdhsa_group_segment_fixed_size 0
		.amdhsa_private_segment_fixed_size 0
		.amdhsa_kernarg_size 296
		.amdhsa_user_sgpr_count 6
		.amdhsa_user_sgpr_private_segment_buffer 1
		.amdhsa_user_sgpr_dispatch_ptr 0
		.amdhsa_user_sgpr_queue_ptr 0
		.amdhsa_user_sgpr_kernarg_segment_ptr 1
		.amdhsa_user_sgpr_dispatch_id 0
		.amdhsa_user_sgpr_flat_scratch_init 0
		.amdhsa_user_sgpr_private_segment_size 0
		.amdhsa_uses_dynamic_stack 0
		.amdhsa_system_sgpr_private_segment_wavefront_offset 0
		.amdhsa_system_sgpr_workgroup_id_x 1
		.amdhsa_system_sgpr_workgroup_id_y 0
		.amdhsa_system_sgpr_workgroup_id_z 0
		.amdhsa_system_sgpr_workgroup_info 0
		.amdhsa_system_vgpr_workitem_id 1
		.amdhsa_next_free_vgpr 9
		.amdhsa_next_free_sgpr 20
		.amdhsa_reserve_vcc 1
		.amdhsa_reserve_flat_scratch 0
		.amdhsa_float_round_mode_32 0
		.amdhsa_float_round_mode_16_64 0
		.amdhsa_float_denorm_mode_32 3
		.amdhsa_float_denorm_mode_16_64 3
		.amdhsa_dx10_clamp 1
		.amdhsa_ieee_mode 1
		.amdhsa_fp16_overflow 0
		.amdhsa_exception_fp_ieee_invalid_op 0
		.amdhsa_exception_fp_denorm_src 0
		.amdhsa_exception_fp_ieee_div_zero 0
		.amdhsa_exception_fp_ieee_overflow 0
		.amdhsa_exception_fp_ieee_underflow 0
		.amdhsa_exception_fp_ieee_inexact 0
		.amdhsa_exception_int_div_zero 0
	.end_amdhsa_kernel
	.section	.text._ZN2at6native12_GLOBAL__N_132weight_norm_fwd_first_dim_kernelIffEEvPT_PT0_PKS3_S8_i,"axG",@progbits,_ZN2at6native12_GLOBAL__N_132weight_norm_fwd_first_dim_kernelIffEEvPT_PT0_PKS3_S8_i,comdat
.Lfunc_end1:
	.size	_ZN2at6native12_GLOBAL__N_132weight_norm_fwd_first_dim_kernelIffEEvPT_PT0_PKS3_S8_i, .Lfunc_end1-_ZN2at6native12_GLOBAL__N_132weight_norm_fwd_first_dim_kernelIffEEvPT_PT0_PKS3_S8_i
                                        ; -- End function
	.set _ZN2at6native12_GLOBAL__N_132weight_norm_fwd_first_dim_kernelIffEEvPT_PT0_PKS3_S8_i.num_vgpr, 9
	.set _ZN2at6native12_GLOBAL__N_132weight_norm_fwd_first_dim_kernelIffEEvPT_PT0_PKS3_S8_i.num_agpr, 0
	.set _ZN2at6native12_GLOBAL__N_132weight_norm_fwd_first_dim_kernelIffEEvPT_PT0_PKS3_S8_i.numbered_sgpr, 20
	.set _ZN2at6native12_GLOBAL__N_132weight_norm_fwd_first_dim_kernelIffEEvPT_PT0_PKS3_S8_i.num_named_barrier, 0
	.set _ZN2at6native12_GLOBAL__N_132weight_norm_fwd_first_dim_kernelIffEEvPT_PT0_PKS3_S8_i.private_seg_size, 0
	.set _ZN2at6native12_GLOBAL__N_132weight_norm_fwd_first_dim_kernelIffEEvPT_PT0_PKS3_S8_i.uses_vcc, 1
	.set _ZN2at6native12_GLOBAL__N_132weight_norm_fwd_first_dim_kernelIffEEvPT_PT0_PKS3_S8_i.uses_flat_scratch, 0
	.set _ZN2at6native12_GLOBAL__N_132weight_norm_fwd_first_dim_kernelIffEEvPT_PT0_PKS3_S8_i.has_dyn_sized_stack, 0
	.set _ZN2at6native12_GLOBAL__N_132weight_norm_fwd_first_dim_kernelIffEEvPT_PT0_PKS3_S8_i.has_recursion, 0
	.set _ZN2at6native12_GLOBAL__N_132weight_norm_fwd_first_dim_kernelIffEEvPT_PT0_PKS3_S8_i.has_indirect_call, 0
	.section	.AMDGPU.csdata,"",@progbits
; Kernel info:
; codeLenInByte = 980
; TotalNumSgprs: 24
; NumVgprs: 9
; ScratchSize: 0
; MemoryBound: 0
; FloatMode: 240
; IeeeMode: 1
; LDSByteSize: 0 bytes/workgroup (compile time only)
; SGPRBlocks: 2
; VGPRBlocks: 2
; NumSGPRsForWavesPerEU: 24
; NumVGPRsForWavesPerEU: 9
; Occupancy: 10
; WaveLimiterHint : 0
; COMPUTE_PGM_RSRC2:SCRATCH_EN: 0
; COMPUTE_PGM_RSRC2:USER_SGPR: 6
; COMPUTE_PGM_RSRC2:TRAP_HANDLER: 0
; COMPUTE_PGM_RSRC2:TGID_X_EN: 1
; COMPUTE_PGM_RSRC2:TGID_Y_EN: 0
; COMPUTE_PGM_RSRC2:TGID_Z_EN: 0
; COMPUTE_PGM_RSRC2:TIDIG_COMP_CNT: 1
	.section	.text._ZN2at6native12_GLOBAL__N_132weight_norm_fwd_first_dim_kernelIN3c108BFloat16EfEEvPT_PT0_PKS5_SA_i,"axG",@progbits,_ZN2at6native12_GLOBAL__N_132weight_norm_fwd_first_dim_kernelIN3c108BFloat16EfEEvPT_PT0_PKS5_SA_i,comdat
	.globl	_ZN2at6native12_GLOBAL__N_132weight_norm_fwd_first_dim_kernelIN3c108BFloat16EfEEvPT_PT0_PKS5_SA_i ; -- Begin function _ZN2at6native12_GLOBAL__N_132weight_norm_fwd_first_dim_kernelIN3c108BFloat16EfEEvPT_PT0_PKS5_SA_i
	.p2align	8
	.type	_ZN2at6native12_GLOBAL__N_132weight_norm_fwd_first_dim_kernelIN3c108BFloat16EfEEvPT_PT0_PKS5_SA_i,@function
_ZN2at6native12_GLOBAL__N_132weight_norm_fwd_first_dim_kernelIN3c108BFloat16EfEEvPT_PT0_PKS5_SA_i: ; @_ZN2at6native12_GLOBAL__N_132weight_norm_fwd_first_dim_kernelIN3c108BFloat16EfEEvPT_PT0_PKS5_SA_i
; %bb.0:
	s_load_dword s0, s[4:5], 0x34
	s_load_dword s18, s[4:5], 0x20
	s_load_dwordx8 s[8:15], s[4:5], 0x0
	s_add_u32 s2, s4, 40
	s_addc_u32 s3, s5, 0
	s_waitcnt lgkmcnt(0)
	s_and_b32 s19, s0, 0xffff
	s_mul_i32 s20, s18, s6
	v_cmp_gt_i32_e64 s[0:1], s18, v0
	v_mov_b32_e32 v4, 0
	s_and_saveexec_b64 s[4:5], s[0:1]
	s_cbranch_execz .LBB2_4
; %bb.1:
	v_add_u32_e32 v2, s20, v0
	v_ashrrev_i32_e32 v3, 31, v2
	v_lshlrev_b64 v[2:3], 1, v[2:3]
	v_mov_b32_e32 v4, s13
	v_add_co_u32_e32 v2, vcc, s12, v2
	v_addc_co_u32_e32 v3, vcc, v4, v3, vcc
	s_lshl_b32 s7, s19, 1
	v_mov_b32_e32 v4, 0
	s_mov_b64 s[16:17], 0
	v_mov_b32_e32 v5, v0
.LBB2_2:                                ; =>This Inner Loop Header: Depth=1
	global_load_ushort v6, v[2:3], off
	v_add_co_u32_e32 v2, vcc, s7, v2
	v_add_u32_e32 v5, s19, v5
	v_addc_co_u32_e32 v3, vcc, 0, v3, vcc
	v_cmp_le_i32_e32 vcc, s18, v5
	s_or_b64 s[16:17], vcc, s[16:17]
	s_waitcnt vmcnt(0)
	v_lshlrev_b32_e32 v6, 16, v6
	v_fmac_f32_e32 v4, v6, v6
	s_andn2_b64 exec, exec, s[16:17]
	s_cbranch_execnz .LBB2_2
; %bb.3:
	s_or_b64 exec, exec, s[16:17]
.LBB2_4:
	s_or_b64 exec, exec, s[4:5]
	s_load_dword s2, s[2:3], 0xc
	v_mad_u32_u24 v1, v1, s19, v0
	s_waitcnt lgkmcnt(0)
	s_lshr_b32 s2, s2, 16
	s_mul_i32 s2, s2, s19
	s_cmp_gt_i32 s2, 63
	s_cselect_b64 s[4:5], -1, 0
	s_cmp_lt_i32 s2, 64
	s_cbranch_scc1 .LBB2_6
; %bb.5:
	v_lshl_add_u32 v2, v1, 2, 0
	ds_write_b32 v2, v4
	s_waitcnt lgkmcnt(0)
	s_barrier
.LBB2_6:
	s_ashr_i32 s7, s2, 1
	s_cmp_lt_i32 s7, 64
	s_cbranch_scc1 .LBB2_11
; %bb.7:
	v_lshl_add_u32 v2, v1, 2, 0
	s_branch .LBB2_9
.LBB2_8:                                ;   in Loop: Header=BB2_9 Depth=1
	s_or_b64 exec, exec, s[2:3]
	s_lshr_b32 s2, s7, 1
	s_cmpk_lt_u32 s7, 0x80
	s_mov_b32 s7, s2
	s_waitcnt lgkmcnt(0)
	s_barrier
	s_cbranch_scc1 .LBB2_11
.LBB2_9:                                ; =>This Inner Loop Header: Depth=1
	v_cmp_gt_i32_e32 vcc, s7, v1
	s_and_saveexec_b64 s[2:3], vcc
	s_cbranch_execz .LBB2_8
; %bb.10:                               ;   in Loop: Header=BB2_9 Depth=1
	v_lshl_add_u32 v3, s7, 2, v2
	ds_read_b32 v5, v2
	ds_read_b32 v3, v3
	s_waitcnt lgkmcnt(0)
	v_add_f32_e32 v3, v5, v3
	ds_write_b32 v2, v3
	s_branch .LBB2_8
.LBB2_11:
	v_cmp_gt_u32_e32 vcc, 32, v1
	s_and_saveexec_b64 s[2:3], vcc
	s_cbranch_execz .LBB2_16
; %bb.12:
	s_andn2_b64 vcc, exec, s[4:5]
	s_cbranch_vccnz .LBB2_14
; %bb.13:
	v_lshl_add_u32 v2, v1, 2, 0
	ds_read2_b32 v[2:3], v2 offset1:32
	s_waitcnt lgkmcnt(0)
	v_add_f32_e32 v4, v2, v3
.LBB2_14:
	v_mbcnt_lo_u32_b32 v2, -1, 0
	v_mbcnt_hi_u32_b32 v2, -1, v2
	v_and_b32_e32 v3, 63, v2
	v_cmp_gt_u32_e32 vcc, 48, v3
	v_cndmask_b32_e64 v5, 0, 16, vcc
	v_add_lshl_u32 v5, v5, v2, 2
	ds_bpermute_b32 v5, v5, v4
	v_cmp_gt_u32_e32 vcc, 56, v3
	v_cndmask_b32_e64 v6, 0, 8, vcc
	v_add_lshl_u32 v6, v6, v2, 2
	v_cmp_gt_u32_e32 vcc, 60, v3
	s_waitcnt lgkmcnt(0)
	v_add_f32_e32 v4, v4, v5
	ds_bpermute_b32 v5, v6, v4
	v_cndmask_b32_e64 v6, 0, 4, vcc
	v_add_lshl_u32 v6, v6, v2, 2
	v_cmp_gt_u32_e32 vcc, 62, v3
	s_waitcnt lgkmcnt(0)
	v_add_f32_e32 v4, v4, v5
	ds_bpermute_b32 v5, v6, v4
	v_cndmask_b32_e64 v6, 0, 2, vcc
	v_add_lshl_u32 v6, v6, v2, 2
	v_cmp_ne_u32_e32 vcc, 63, v3
	v_addc_co_u32_e32 v3, vcc, 0, v2, vcc
	s_waitcnt lgkmcnt(0)
	v_add_f32_e32 v4, v4, v5
	ds_bpermute_b32 v5, v6, v4
	v_lshlrev_b32_e32 v3, 2, v3
	v_cmp_eq_u32_e32 vcc, 0, v1
	s_waitcnt lgkmcnt(0)
	v_add_f32_e32 v2, v4, v5
	ds_bpermute_b32 v3, v3, v2
	s_and_b64 exec, exec, vcc
	s_cbranch_execz .LBB2_16
; %bb.15:
	s_waitcnt lgkmcnt(0)
	v_add_f32_e32 v1, v2, v3
	v_mov_b32_e32 v2, 0
	ds_write_b32 v2, v1
.LBB2_16:
	s_or_b64 exec, exec, s[2:3]
	v_mov_b32_e32 v2, 0
	s_waitcnt lgkmcnt(0)
	s_barrier
	ds_read_b32 v1, v2
	s_mov_b32 s2, 0xf800000
	s_ashr_i32 s7, s6, 31
	s_waitcnt lgkmcnt(0)
	v_mul_f32_e32 v3, 0x4f800000, v1
	v_cmp_gt_f32_e32 vcc, s2, v1
	v_cndmask_b32_e32 v1, v1, v3, vcc
	v_sqrt_f32_e32 v3, v1
	v_add_u32_e32 v4, -1, v3
	v_fma_f32 v6, -v4, v3, v1
	v_add_u32_e32 v5, 1, v3
	v_cmp_ge_f32_e64 s[2:3], 0, v6
	v_cndmask_b32_e64 v4, v3, v4, s[2:3]
	v_fma_f32 v3, -v5, v3, v1
	v_cmp_lt_f32_e64 s[2:3], 0, v3
	v_cndmask_b32_e64 v3, v4, v5, s[2:3]
	v_mul_f32_e32 v4, 0x37800000, v3
	v_cndmask_b32_e32 v3, v3, v4, vcc
	v_mov_b32_e32 v4, 0x260
	v_cmp_class_f32_e32 vcc, v1, v4
	v_cndmask_b32_e32 v1, v3, v1, vcc
	v_cmp_eq_u32_e32 vcc, 0, v0
	s_and_saveexec_b64 s[2:3], vcc
	s_cbranch_execz .LBB2_18
; %bb.17:
	s_lshl_b64 s[4:5], s[6:7], 2
	s_add_u32 s4, s10, s4
	s_addc_u32 s5, s11, s5
	global_store_dword v2, v1, s[4:5]
.LBB2_18:
	s_or_b64 exec, exec, s[2:3]
	s_and_saveexec_b64 s[2:3], s[0:1]
	s_cbranch_execz .LBB2_26
; %bb.19:
	s_lshl_b64 s[0:1], s[6:7], 1
	s_add_u32 s0, s14, s0
	s_addc_u32 s1, s15, s1
	v_mov_b32_e32 v2, 0
	global_load_ushort v2, v2, s[0:1]
	v_div_scale_f32 v3, s[0:1], v1, v1, 1.0
	v_div_scale_f32 v4, vcc, 1.0, v1, 1.0
	s_and_b32 s0, s19, 0xffff
	s_cmp_eq_u32 s0, 1
	s_cselect_b64 s[0:1], -1, 0
	s_mov_b64 s[2:3], -1
	v_rcp_f32_e32 v5, v3
	v_fma_f32 v6, -v3, v5, 1.0
	v_fmac_f32_e32 v5, v6, v5
	v_mul_f32_e32 v6, v4, v5
	v_fma_f32 v7, -v3, v6, v4
	v_fmac_f32_e32 v6, v7, v5
	v_fma_f32 v3, -v3, v6, v4
	v_div_fmas_f32 v3, v3, v5, v6
	v_add_u32_e32 v4, 1, v0
	v_max_i32_e32 v4, s18, v4
	v_sub_u32_e32 v5, v4, v0
	v_cmp_lt_u32_e32 vcc, 1, v5
	s_and_b64 s[4:5], vcc, s[0:1]
	v_div_fixup_f32 v3, v3, v1, 1.0
	s_waitcnt vmcnt(0)
	v_lshlrev_b32_e32 v4, 16, v2
	s_and_saveexec_b64 s[0:1], s[4:5]
	s_cbranch_execz .LBB2_23
; %bb.20:
	v_and_b32_e32 v6, -2, v5
	v_add_u32_e32 v1, s20, v0
	s_mov_b64 s[2:3], 0
	v_mov_b32_e32 v7, s13
	s_movk_i32 s4, 0x7fff
	v_mov_b32_e32 v8, 0x7fc0
	s_mov_b32 s5, 0x5040100
	v_mov_b32_e32 v9, s9
	v_mov_b32_e32 v10, 1
	;; [unrolled: 1-line block ×3, first 2 shown]
.LBB2_21:                               ; =>This Inner Loop Header: Depth=1
	v_ashrrev_i32_e32 v2, 31, v1
	v_lshlrev_b64 v[12:13], 1, v[1:2]
	v_add_u32_e32 v11, -2, v11
	v_add_co_u32_e32 v14, vcc, s12, v12
	v_addc_co_u32_e32 v15, vcc, v7, v13, vcc
	global_load_dword v2, v[14:15], off
	v_cmp_eq_u32_e32 vcc, 0, v11
	s_or_b64 s[2:3], vcc, s[2:3]
	v_add_co_u32_e32 v12, vcc, s8, v12
	v_addc_co_u32_e32 v13, vcc, v9, v13, vcc
	v_add_u32_e32 v1, 2, v1
	s_waitcnt vmcnt(0)
	v_lshlrev_b32_e32 v14, 16, v2
	v_and_b32_e32 v2, 0xffff0000, v2
	v_mul_f32_e32 v14, v4, v14
	v_mul_f32_e32 v2, v4, v2
	v_mul_f32_e32 v14, v3, v14
	v_mul_f32_e32 v2, v3, v2
	v_and_b32_sdwa v16, v14, v10 dst_sel:DWORD dst_unused:UNUSED_PAD src0_sel:WORD_1 src1_sel:DWORD
	v_and_b32_sdwa v15, v2, v10 dst_sel:DWORD dst_unused:UNUSED_PAD src0_sel:WORD_1 src1_sel:DWORD
	v_add3_u32 v16, v14, v16, s4
	v_add3_u32 v15, v2, v15, s4
	v_lshrrev_b32_e32 v16, 16, v16
	v_cmp_o_f32_e32 vcc, v14, v14
	v_lshrrev_b32_e32 v15, 16, v15
	v_cndmask_b32_e32 v14, v8, v16, vcc
	v_cmp_o_f32_e32 vcc, v2, v2
	v_cndmask_b32_e32 v2, v8, v15, vcc
	v_perm_b32 v2, v2, v14, s5
	global_store_dword v[12:13], v2, off
	s_andn2_b64 exec, exec, s[2:3]
	s_cbranch_execnz .LBB2_21
; %bb.22:
	s_or_b64 exec, exec, s[2:3]
	v_cmp_ne_u32_e32 vcc, v5, v6
	v_add_u32_e32 v0, v0, v6
	s_orn2_b64 s[2:3], vcc, exec
.LBB2_23:
	s_or_b64 exec, exec, s[0:1]
	s_and_b64 exec, exec, s[2:3]
	s_cbranch_execz .LBB2_26
; %bb.24:
	s_ashr_i32 s0, s20, 31
	v_ashrrev_i32_e32 v2, 31, v0
	v_mov_b32_e32 v5, s0
	v_add_co_u32_e32 v1, vcc, s20, v0
	v_addc_co_u32_e32 v2, vcc, v2, v5, vcc
	v_lshlrev_b64 v[1:2], 1, v[1:2]
	s_lshl_b32 s2, s19, 1
	s_mov_b64 s[0:1], 0
	v_mov_b32_e32 v5, s13
	s_movk_i32 s3, 0x7fff
	v_mov_b32_e32 v6, 0x7fc0
	v_mov_b32_e32 v7, s9
.LBB2_25:                               ; =>This Inner Loop Header: Depth=1
	v_add_co_u32_e32 v8, vcc, s12, v1
	v_addc_co_u32_e32 v9, vcc, v5, v2, vcc
	global_load_ushort v10, v[8:9], off
	v_add_co_u32_e32 v8, vcc, s8, v1
	v_addc_co_u32_e32 v9, vcc, v7, v2, vcc
	v_add_co_u32_e32 v1, vcc, s2, v1
	v_add_u32_e32 v0, s19, v0
	v_addc_co_u32_e32 v2, vcc, 0, v2, vcc
	v_cmp_le_i32_e32 vcc, s18, v0
	s_or_b64 s[0:1], vcc, s[0:1]
	s_waitcnt vmcnt(0)
	v_lshlrev_b32_e32 v10, 16, v10
	v_mul_f32_e32 v10, v4, v10
	v_mul_f32_e32 v10, v3, v10
	v_bfe_u32 v11, v10, 16, 1
	v_add3_u32 v11, v10, v11, s3
	v_lshrrev_b32_e32 v11, 16, v11
	v_cmp_o_f32_e32 vcc, v10, v10
	v_cndmask_b32_e32 v10, v6, v11, vcc
	global_store_short v[8:9], v10, off
	s_andn2_b64 exec, exec, s[0:1]
	s_cbranch_execnz .LBB2_25
.LBB2_26:
	s_endpgm
	.section	.rodata,"a",@progbits
	.p2align	6, 0x0
	.amdhsa_kernel _ZN2at6native12_GLOBAL__N_132weight_norm_fwd_first_dim_kernelIN3c108BFloat16EfEEvPT_PT0_PKS5_SA_i
		.amdhsa_group_segment_fixed_size 0
		.amdhsa_private_segment_fixed_size 0
		.amdhsa_kernarg_size 296
		.amdhsa_user_sgpr_count 6
		.amdhsa_user_sgpr_private_segment_buffer 1
		.amdhsa_user_sgpr_dispatch_ptr 0
		.amdhsa_user_sgpr_queue_ptr 0
		.amdhsa_user_sgpr_kernarg_segment_ptr 1
		.amdhsa_user_sgpr_dispatch_id 0
		.amdhsa_user_sgpr_flat_scratch_init 0
		.amdhsa_user_sgpr_private_segment_size 0
		.amdhsa_uses_dynamic_stack 0
		.amdhsa_system_sgpr_private_segment_wavefront_offset 0
		.amdhsa_system_sgpr_workgroup_id_x 1
		.amdhsa_system_sgpr_workgroup_id_y 0
		.amdhsa_system_sgpr_workgroup_id_z 0
		.amdhsa_system_sgpr_workgroup_info 0
		.amdhsa_system_vgpr_workitem_id 1
		.amdhsa_next_free_vgpr 17
		.amdhsa_next_free_sgpr 21
		.amdhsa_reserve_vcc 1
		.amdhsa_reserve_flat_scratch 0
		.amdhsa_float_round_mode_32 0
		.amdhsa_float_round_mode_16_64 0
		.amdhsa_float_denorm_mode_32 3
		.amdhsa_float_denorm_mode_16_64 3
		.amdhsa_dx10_clamp 1
		.amdhsa_ieee_mode 1
		.amdhsa_fp16_overflow 0
		.amdhsa_exception_fp_ieee_invalid_op 0
		.amdhsa_exception_fp_denorm_src 0
		.amdhsa_exception_fp_ieee_div_zero 0
		.amdhsa_exception_fp_ieee_overflow 0
		.amdhsa_exception_fp_ieee_underflow 0
		.amdhsa_exception_fp_ieee_inexact 0
		.amdhsa_exception_int_div_zero 0
	.end_amdhsa_kernel
	.section	.text._ZN2at6native12_GLOBAL__N_132weight_norm_fwd_first_dim_kernelIN3c108BFloat16EfEEvPT_PT0_PKS5_SA_i,"axG",@progbits,_ZN2at6native12_GLOBAL__N_132weight_norm_fwd_first_dim_kernelIN3c108BFloat16EfEEvPT_PT0_PKS5_SA_i,comdat
.Lfunc_end2:
	.size	_ZN2at6native12_GLOBAL__N_132weight_norm_fwd_first_dim_kernelIN3c108BFloat16EfEEvPT_PT0_PKS5_SA_i, .Lfunc_end2-_ZN2at6native12_GLOBAL__N_132weight_norm_fwd_first_dim_kernelIN3c108BFloat16EfEEvPT_PT0_PKS5_SA_i
                                        ; -- End function
	.set _ZN2at6native12_GLOBAL__N_132weight_norm_fwd_first_dim_kernelIN3c108BFloat16EfEEvPT_PT0_PKS5_SA_i.num_vgpr, 17
	.set _ZN2at6native12_GLOBAL__N_132weight_norm_fwd_first_dim_kernelIN3c108BFloat16EfEEvPT_PT0_PKS5_SA_i.num_agpr, 0
	.set _ZN2at6native12_GLOBAL__N_132weight_norm_fwd_first_dim_kernelIN3c108BFloat16EfEEvPT_PT0_PKS5_SA_i.numbered_sgpr, 21
	.set _ZN2at6native12_GLOBAL__N_132weight_norm_fwd_first_dim_kernelIN3c108BFloat16EfEEvPT_PT0_PKS5_SA_i.num_named_barrier, 0
	.set _ZN2at6native12_GLOBAL__N_132weight_norm_fwd_first_dim_kernelIN3c108BFloat16EfEEvPT_PT0_PKS5_SA_i.private_seg_size, 0
	.set _ZN2at6native12_GLOBAL__N_132weight_norm_fwd_first_dim_kernelIN3c108BFloat16EfEEvPT_PT0_PKS5_SA_i.uses_vcc, 1
	.set _ZN2at6native12_GLOBAL__N_132weight_norm_fwd_first_dim_kernelIN3c108BFloat16EfEEvPT_PT0_PKS5_SA_i.uses_flat_scratch, 0
	.set _ZN2at6native12_GLOBAL__N_132weight_norm_fwd_first_dim_kernelIN3c108BFloat16EfEEvPT_PT0_PKS5_SA_i.has_dyn_sized_stack, 0
	.set _ZN2at6native12_GLOBAL__N_132weight_norm_fwd_first_dim_kernelIN3c108BFloat16EfEEvPT_PT0_PKS5_SA_i.has_recursion, 0
	.set _ZN2at6native12_GLOBAL__N_132weight_norm_fwd_first_dim_kernelIN3c108BFloat16EfEEvPT_PT0_PKS5_SA_i.has_indirect_call, 0
	.section	.AMDGPU.csdata,"",@progbits
; Kernel info:
; codeLenInByte = 1348
; TotalNumSgprs: 25
; NumVgprs: 17
; ScratchSize: 0
; MemoryBound: 0
; FloatMode: 240
; IeeeMode: 1
; LDSByteSize: 0 bytes/workgroup (compile time only)
; SGPRBlocks: 3
; VGPRBlocks: 4
; NumSGPRsForWavesPerEU: 25
; NumVGPRsForWavesPerEU: 17
; Occupancy: 10
; WaveLimiterHint : 0
; COMPUTE_PGM_RSRC2:SCRATCH_EN: 0
; COMPUTE_PGM_RSRC2:USER_SGPR: 6
; COMPUTE_PGM_RSRC2:TRAP_HANDLER: 0
; COMPUTE_PGM_RSRC2:TGID_X_EN: 1
; COMPUTE_PGM_RSRC2:TGID_Y_EN: 0
; COMPUTE_PGM_RSRC2:TGID_Z_EN: 0
; COMPUTE_PGM_RSRC2:TIDIG_COMP_CNT: 1
	.section	.text._ZN2at6native12_GLOBAL__N_132weight_norm_fwd_first_dim_kernelIN3c104HalfEfEEvPT_PT0_PKS5_SA_i,"axG",@progbits,_ZN2at6native12_GLOBAL__N_132weight_norm_fwd_first_dim_kernelIN3c104HalfEfEEvPT_PT0_PKS5_SA_i,comdat
	.globl	_ZN2at6native12_GLOBAL__N_132weight_norm_fwd_first_dim_kernelIN3c104HalfEfEEvPT_PT0_PKS5_SA_i ; -- Begin function _ZN2at6native12_GLOBAL__N_132weight_norm_fwd_first_dim_kernelIN3c104HalfEfEEvPT_PT0_PKS5_SA_i
	.p2align	8
	.type	_ZN2at6native12_GLOBAL__N_132weight_norm_fwd_first_dim_kernelIN3c104HalfEfEEvPT_PT0_PKS5_SA_i,@function
_ZN2at6native12_GLOBAL__N_132weight_norm_fwd_first_dim_kernelIN3c104HalfEfEEvPT_PT0_PKS5_SA_i: ; @_ZN2at6native12_GLOBAL__N_132weight_norm_fwd_first_dim_kernelIN3c104HalfEfEEvPT_PT0_PKS5_SA_i
; %bb.0:
	s_load_dword s0, s[4:5], 0x34
	s_load_dword s18, s[4:5], 0x20
	s_load_dwordx8 s[8:15], s[4:5], 0x0
	s_add_u32 s2, s4, 40
	s_addc_u32 s3, s5, 0
	s_waitcnt lgkmcnt(0)
	s_and_b32 s19, s0, 0xffff
	s_mul_i32 s20, s18, s6
	v_cmp_gt_i32_e64 s[0:1], s18, v0
	v_mov_b32_e32 v4, 0
	s_and_saveexec_b64 s[4:5], s[0:1]
	s_cbranch_execz .LBB3_4
; %bb.1:
	v_add_u32_e32 v2, s20, v0
	v_ashrrev_i32_e32 v3, 31, v2
	v_lshlrev_b64 v[2:3], 1, v[2:3]
	v_mov_b32_e32 v4, s13
	v_add_co_u32_e32 v2, vcc, s12, v2
	v_addc_co_u32_e32 v3, vcc, v4, v3, vcc
	s_lshl_b32 s7, s19, 1
	v_mov_b32_e32 v4, 0
	s_mov_b64 s[16:17], 0
	v_mov_b32_e32 v5, v0
.LBB3_2:                                ; =>This Inner Loop Header: Depth=1
	global_load_ushort v6, v[2:3], off
	v_add_co_u32_e32 v2, vcc, s7, v2
	v_add_u32_e32 v5, s19, v5
	v_addc_co_u32_e32 v3, vcc, 0, v3, vcc
	v_cmp_le_i32_e32 vcc, s18, v5
	s_or_b64 s[16:17], vcc, s[16:17]
	s_waitcnt vmcnt(0)
	v_fma_mix_f32 v4, v6, v6, v4 op_sel_hi:[1,1,0]
	s_andn2_b64 exec, exec, s[16:17]
	s_cbranch_execnz .LBB3_2
; %bb.3:
	s_or_b64 exec, exec, s[16:17]
.LBB3_4:
	s_or_b64 exec, exec, s[4:5]
	s_load_dword s2, s[2:3], 0xc
	v_mad_u32_u24 v1, v1, s19, v0
	s_waitcnt lgkmcnt(0)
	s_lshr_b32 s2, s2, 16
	s_mul_i32 s2, s2, s19
	s_cmp_gt_i32 s2, 63
	s_cselect_b64 s[4:5], -1, 0
	s_cmp_lt_i32 s2, 64
	s_cbranch_scc1 .LBB3_6
; %bb.5:
	v_lshl_add_u32 v2, v1, 2, 0
	ds_write_b32 v2, v4
	s_waitcnt lgkmcnt(0)
	s_barrier
.LBB3_6:
	s_ashr_i32 s7, s2, 1
	s_cmp_lt_i32 s7, 64
	s_cbranch_scc1 .LBB3_11
; %bb.7:
	v_lshl_add_u32 v2, v1, 2, 0
	s_branch .LBB3_9
.LBB3_8:                                ;   in Loop: Header=BB3_9 Depth=1
	s_or_b64 exec, exec, s[2:3]
	s_lshr_b32 s2, s7, 1
	s_cmpk_lt_u32 s7, 0x80
	s_mov_b32 s7, s2
	s_waitcnt lgkmcnt(0)
	s_barrier
	s_cbranch_scc1 .LBB3_11
.LBB3_9:                                ; =>This Inner Loop Header: Depth=1
	v_cmp_gt_i32_e32 vcc, s7, v1
	s_and_saveexec_b64 s[2:3], vcc
	s_cbranch_execz .LBB3_8
; %bb.10:                               ;   in Loop: Header=BB3_9 Depth=1
	v_lshl_add_u32 v3, s7, 2, v2
	ds_read_b32 v5, v2
	ds_read_b32 v3, v3
	s_waitcnt lgkmcnt(0)
	v_add_f32_e32 v3, v5, v3
	ds_write_b32 v2, v3
	s_branch .LBB3_8
.LBB3_11:
	v_cmp_gt_u32_e32 vcc, 32, v1
	s_and_saveexec_b64 s[2:3], vcc
	s_cbranch_execz .LBB3_16
; %bb.12:
	s_andn2_b64 vcc, exec, s[4:5]
	s_cbranch_vccnz .LBB3_14
; %bb.13:
	v_lshl_add_u32 v2, v1, 2, 0
	ds_read2_b32 v[2:3], v2 offset1:32
	s_waitcnt lgkmcnt(0)
	v_add_f32_e32 v4, v2, v3
.LBB3_14:
	v_mbcnt_lo_u32_b32 v2, -1, 0
	v_mbcnt_hi_u32_b32 v2, -1, v2
	v_and_b32_e32 v3, 63, v2
	v_cmp_gt_u32_e32 vcc, 48, v3
	v_cndmask_b32_e64 v5, 0, 16, vcc
	v_add_lshl_u32 v5, v5, v2, 2
	ds_bpermute_b32 v5, v5, v4
	v_cmp_gt_u32_e32 vcc, 56, v3
	v_cndmask_b32_e64 v6, 0, 8, vcc
	v_add_lshl_u32 v6, v6, v2, 2
	v_cmp_gt_u32_e32 vcc, 60, v3
	s_waitcnt lgkmcnt(0)
	v_add_f32_e32 v4, v4, v5
	ds_bpermute_b32 v5, v6, v4
	v_cndmask_b32_e64 v6, 0, 4, vcc
	v_add_lshl_u32 v6, v6, v2, 2
	v_cmp_gt_u32_e32 vcc, 62, v3
	s_waitcnt lgkmcnt(0)
	v_add_f32_e32 v4, v4, v5
	ds_bpermute_b32 v5, v6, v4
	v_cndmask_b32_e64 v6, 0, 2, vcc
	v_add_lshl_u32 v6, v6, v2, 2
	v_cmp_ne_u32_e32 vcc, 63, v3
	v_addc_co_u32_e32 v3, vcc, 0, v2, vcc
	s_waitcnt lgkmcnt(0)
	v_add_f32_e32 v4, v4, v5
	ds_bpermute_b32 v5, v6, v4
	v_lshlrev_b32_e32 v3, 2, v3
	v_cmp_eq_u32_e32 vcc, 0, v1
	s_waitcnt lgkmcnt(0)
	v_add_f32_e32 v2, v4, v5
	ds_bpermute_b32 v3, v3, v2
	s_and_b64 exec, exec, vcc
	s_cbranch_execz .LBB3_16
; %bb.15:
	s_waitcnt lgkmcnt(0)
	v_add_f32_e32 v1, v2, v3
	v_mov_b32_e32 v2, 0
	ds_write_b32 v2, v1
.LBB3_16:
	s_or_b64 exec, exec, s[2:3]
	v_mov_b32_e32 v2, 0
	s_waitcnt lgkmcnt(0)
	s_barrier
	ds_read_b32 v1, v2
	s_mov_b32 s2, 0xf800000
	s_ashr_i32 s7, s6, 31
	s_waitcnt lgkmcnt(0)
	v_mul_f32_e32 v3, 0x4f800000, v1
	v_cmp_gt_f32_e32 vcc, s2, v1
	v_cndmask_b32_e32 v1, v1, v3, vcc
	v_sqrt_f32_e32 v3, v1
	v_add_u32_e32 v4, -1, v3
	v_fma_f32 v6, -v4, v3, v1
	v_add_u32_e32 v5, 1, v3
	v_cmp_ge_f32_e64 s[2:3], 0, v6
	v_cndmask_b32_e64 v4, v3, v4, s[2:3]
	v_fma_f32 v3, -v5, v3, v1
	v_cmp_lt_f32_e64 s[2:3], 0, v3
	v_cndmask_b32_e64 v3, v4, v5, s[2:3]
	v_mul_f32_e32 v4, 0x37800000, v3
	v_cndmask_b32_e32 v3, v3, v4, vcc
	v_mov_b32_e32 v4, 0x260
	v_cmp_class_f32_e32 vcc, v1, v4
	v_cndmask_b32_e32 v1, v3, v1, vcc
	v_cmp_eq_u32_e32 vcc, 0, v0
	s_and_saveexec_b64 s[2:3], vcc
	s_cbranch_execz .LBB3_18
; %bb.17:
	s_lshl_b64 s[4:5], s[6:7], 2
	s_add_u32 s4, s10, s4
	s_addc_u32 s5, s11, s5
	global_store_dword v2, v1, s[4:5]
.LBB3_18:
	s_or_b64 exec, exec, s[2:3]
	s_and_saveexec_b64 s[2:3], s[0:1]
	s_cbranch_execz .LBB3_26
; %bb.19:
	s_lshl_b64 s[0:1], s[6:7], 1
	s_add_u32 s0, s14, s0
	s_addc_u32 s1, s15, s1
	v_mov_b32_e32 v2, 0
	global_load_ushort v2, v2, s[0:1]
	v_div_scale_f32 v3, s[0:1], v1, v1, 1.0
	v_div_scale_f32 v4, vcc, 1.0, v1, 1.0
	s_and_b32 s0, s19, 0xffff
	s_cmp_eq_u32 s0, 1
	s_cselect_b64 s[0:1], -1, 0
	s_mov_b64 s[2:3], -1
	v_rcp_f32_e32 v5, v3
	v_fma_f32 v6, -v3, v5, 1.0
	v_fmac_f32_e32 v5, v6, v5
	v_mul_f32_e32 v6, v4, v5
	v_fma_f32 v7, -v3, v6, v4
	v_fmac_f32_e32 v6, v7, v5
	v_fma_f32 v3, -v3, v6, v4
	v_div_fmas_f32 v3, v3, v5, v6
	v_add_u32_e32 v4, 1, v0
	v_max_i32_e32 v4, s18, v4
	v_sub_u32_e32 v5, v4, v0
	v_cmp_lt_u32_e32 vcc, 1, v5
	s_and_b64 s[4:5], vcc, s[0:1]
	v_div_fixup_f32 v3, v3, v1, 1.0
	s_waitcnt vmcnt(0)
	v_cvt_f32_f16_e32 v4, v2
	s_and_saveexec_b64 s[0:1], s[4:5]
	s_cbranch_execz .LBB3_23
; %bb.20:
	v_and_b32_e32 v6, -2, v5
	v_add_u32_e32 v1, s20, v0
	s_mov_b64 s[2:3], 0
	v_mov_b32_e32 v7, s13
	v_mov_b32_e32 v8, s9
	;; [unrolled: 1-line block ×3, first 2 shown]
.LBB3_21:                               ; =>This Inner Loop Header: Depth=1
	v_ashrrev_i32_e32 v2, 31, v1
	v_lshlrev_b64 v[10:11], 1, v[1:2]
	v_add_u32_e32 v9, -2, v9
	v_add_co_u32_e32 v12, vcc, s12, v10
	v_addc_co_u32_e32 v13, vcc, v7, v11, vcc
	global_load_dword v2, v[12:13], off
	v_cmp_eq_u32_e32 vcc, 0, v9
	s_or_b64 s[2:3], vcc, s[2:3]
	v_add_co_u32_e32 v10, vcc, s8, v10
	v_addc_co_u32_e32 v11, vcc, v8, v11, vcc
	v_add_u32_e32 v1, 2, v1
	s_waitcnt vmcnt(0)
	v_cvt_f32_f16_e32 v12, v2
	v_cvt_f32_f16_sdwa v2, v2 dst_sel:DWORD dst_unused:UNUSED_PAD src0_sel:WORD_1
	v_mul_f32_e32 v12, v4, v12
	v_mul_f32_e32 v2, v4, v2
	v_fma_mixlo_f16 v12, v3, v12, 0
	v_fma_mixhi_f16 v12, v3, v2, 0
	global_store_dword v[10:11], v12, off
	s_andn2_b64 exec, exec, s[2:3]
	s_cbranch_execnz .LBB3_21
; %bb.22:
	s_or_b64 exec, exec, s[2:3]
	v_cmp_ne_u32_e32 vcc, v5, v6
	v_add_u32_e32 v0, v0, v6
	s_orn2_b64 s[2:3], vcc, exec
.LBB3_23:
	s_or_b64 exec, exec, s[0:1]
	s_and_b64 exec, exec, s[2:3]
	s_cbranch_execz .LBB3_26
; %bb.24:
	s_ashr_i32 s0, s20, 31
	v_ashrrev_i32_e32 v2, 31, v0
	v_mov_b32_e32 v5, s0
	v_add_co_u32_e32 v1, vcc, s20, v0
	v_addc_co_u32_e32 v2, vcc, v2, v5, vcc
	v_lshlrev_b64 v[1:2], 1, v[1:2]
	s_lshl_b32 s2, s19, 1
	s_mov_b64 s[0:1], 0
	v_mov_b32_e32 v5, s13
	v_mov_b32_e32 v6, s9
.LBB3_25:                               ; =>This Inner Loop Header: Depth=1
	v_add_co_u32_e32 v7, vcc, s12, v1
	v_addc_co_u32_e32 v8, vcc, v5, v2, vcc
	global_load_ushort v9, v[7:8], off
	v_add_co_u32_e32 v7, vcc, s8, v1
	v_addc_co_u32_e32 v8, vcc, v6, v2, vcc
	v_add_co_u32_e32 v1, vcc, s2, v1
	v_add_u32_e32 v0, s19, v0
	v_addc_co_u32_e32 v2, vcc, 0, v2, vcc
	v_cmp_le_i32_e32 vcc, s18, v0
	s_or_b64 s[0:1], vcc, s[0:1]
	s_waitcnt vmcnt(0)
	v_cvt_f32_f16_e32 v9, v9
	v_mul_f32_e32 v9, v4, v9
	v_fma_mixlo_f16 v9, v3, v9, 0
	global_store_short v[7:8], v9, off
	s_andn2_b64 exec, exec, s[0:1]
	s_cbranch_execnz .LBB3_25
.LBB3_26:
	s_endpgm
	.section	.rodata,"a",@progbits
	.p2align	6, 0x0
	.amdhsa_kernel _ZN2at6native12_GLOBAL__N_132weight_norm_fwd_first_dim_kernelIN3c104HalfEfEEvPT_PT0_PKS5_SA_i
		.amdhsa_group_segment_fixed_size 0
		.amdhsa_private_segment_fixed_size 0
		.amdhsa_kernarg_size 296
		.amdhsa_user_sgpr_count 6
		.amdhsa_user_sgpr_private_segment_buffer 1
		.amdhsa_user_sgpr_dispatch_ptr 0
		.amdhsa_user_sgpr_queue_ptr 0
		.amdhsa_user_sgpr_kernarg_segment_ptr 1
		.amdhsa_user_sgpr_dispatch_id 0
		.amdhsa_user_sgpr_flat_scratch_init 0
		.amdhsa_user_sgpr_private_segment_size 0
		.amdhsa_uses_dynamic_stack 0
		.amdhsa_system_sgpr_private_segment_wavefront_offset 0
		.amdhsa_system_sgpr_workgroup_id_x 1
		.amdhsa_system_sgpr_workgroup_id_y 0
		.amdhsa_system_sgpr_workgroup_id_z 0
		.amdhsa_system_sgpr_workgroup_info 0
		.amdhsa_system_vgpr_workitem_id 1
		.amdhsa_next_free_vgpr 14
		.amdhsa_next_free_sgpr 21
		.amdhsa_reserve_vcc 1
		.amdhsa_reserve_flat_scratch 0
		.amdhsa_float_round_mode_32 0
		.amdhsa_float_round_mode_16_64 0
		.amdhsa_float_denorm_mode_32 3
		.amdhsa_float_denorm_mode_16_64 3
		.amdhsa_dx10_clamp 1
		.amdhsa_ieee_mode 1
		.amdhsa_fp16_overflow 0
		.amdhsa_exception_fp_ieee_invalid_op 0
		.amdhsa_exception_fp_denorm_src 0
		.amdhsa_exception_fp_ieee_div_zero 0
		.amdhsa_exception_fp_ieee_overflow 0
		.amdhsa_exception_fp_ieee_underflow 0
		.amdhsa_exception_fp_ieee_inexact 0
		.amdhsa_exception_int_div_zero 0
	.end_amdhsa_kernel
	.section	.text._ZN2at6native12_GLOBAL__N_132weight_norm_fwd_first_dim_kernelIN3c104HalfEfEEvPT_PT0_PKS5_SA_i,"axG",@progbits,_ZN2at6native12_GLOBAL__N_132weight_norm_fwd_first_dim_kernelIN3c104HalfEfEEvPT_PT0_PKS5_SA_i,comdat
.Lfunc_end3:
	.size	_ZN2at6native12_GLOBAL__N_132weight_norm_fwd_first_dim_kernelIN3c104HalfEfEEvPT_PT0_PKS5_SA_i, .Lfunc_end3-_ZN2at6native12_GLOBAL__N_132weight_norm_fwd_first_dim_kernelIN3c104HalfEfEEvPT_PT0_PKS5_SA_i
                                        ; -- End function
	.set _ZN2at6native12_GLOBAL__N_132weight_norm_fwd_first_dim_kernelIN3c104HalfEfEEvPT_PT0_PKS5_SA_i.num_vgpr, 14
	.set _ZN2at6native12_GLOBAL__N_132weight_norm_fwd_first_dim_kernelIN3c104HalfEfEEvPT_PT0_PKS5_SA_i.num_agpr, 0
	.set _ZN2at6native12_GLOBAL__N_132weight_norm_fwd_first_dim_kernelIN3c104HalfEfEEvPT_PT0_PKS5_SA_i.numbered_sgpr, 21
	.set _ZN2at6native12_GLOBAL__N_132weight_norm_fwd_first_dim_kernelIN3c104HalfEfEEvPT_PT0_PKS5_SA_i.num_named_barrier, 0
	.set _ZN2at6native12_GLOBAL__N_132weight_norm_fwd_first_dim_kernelIN3c104HalfEfEEvPT_PT0_PKS5_SA_i.private_seg_size, 0
	.set _ZN2at6native12_GLOBAL__N_132weight_norm_fwd_first_dim_kernelIN3c104HalfEfEEvPT_PT0_PKS5_SA_i.uses_vcc, 1
	.set _ZN2at6native12_GLOBAL__N_132weight_norm_fwd_first_dim_kernelIN3c104HalfEfEEvPT_PT0_PKS5_SA_i.uses_flat_scratch, 0
	.set _ZN2at6native12_GLOBAL__N_132weight_norm_fwd_first_dim_kernelIN3c104HalfEfEEvPT_PT0_PKS5_SA_i.has_dyn_sized_stack, 0
	.set _ZN2at6native12_GLOBAL__N_132weight_norm_fwd_first_dim_kernelIN3c104HalfEfEEvPT_PT0_PKS5_SA_i.has_recursion, 0
	.set _ZN2at6native12_GLOBAL__N_132weight_norm_fwd_first_dim_kernelIN3c104HalfEfEEvPT_PT0_PKS5_SA_i.has_indirect_call, 0
	.section	.AMDGPU.csdata,"",@progbits
; Kernel info:
; codeLenInByte = 1232
; TotalNumSgprs: 25
; NumVgprs: 14
; ScratchSize: 0
; MemoryBound: 0
; FloatMode: 240
; IeeeMode: 1
; LDSByteSize: 0 bytes/workgroup (compile time only)
; SGPRBlocks: 3
; VGPRBlocks: 3
; NumSGPRsForWavesPerEU: 25
; NumVGPRsForWavesPerEU: 14
; Occupancy: 10
; WaveLimiterHint : 0
; COMPUTE_PGM_RSRC2:SCRATCH_EN: 0
; COMPUTE_PGM_RSRC2:USER_SGPR: 6
; COMPUTE_PGM_RSRC2:TRAP_HANDLER: 0
; COMPUTE_PGM_RSRC2:TGID_X_EN: 1
; COMPUTE_PGM_RSRC2:TGID_Y_EN: 0
; COMPUTE_PGM_RSRC2:TGID_Z_EN: 0
; COMPUTE_PGM_RSRC2:TIDIG_COMP_CNT: 1
	.section	.text._ZN2at6native12_GLOBAL__N_131weight_norm_fwd_last_dim_kernelIddEEvPT_PT0_PKS3_S8_ii,"axG",@progbits,_ZN2at6native12_GLOBAL__N_131weight_norm_fwd_last_dim_kernelIddEEvPT_PT0_PKS3_S8_ii,comdat
	.globl	_ZN2at6native12_GLOBAL__N_131weight_norm_fwd_last_dim_kernelIddEEvPT_PT0_PKS3_S8_ii ; -- Begin function _ZN2at6native12_GLOBAL__N_131weight_norm_fwd_last_dim_kernelIddEEvPT_PT0_PKS3_S8_ii
	.p2align	8
	.type	_ZN2at6native12_GLOBAL__N_131weight_norm_fwd_last_dim_kernelIddEEvPT_PT0_PKS3_S8_ii,@function
_ZN2at6native12_GLOBAL__N_131weight_norm_fwd_last_dim_kernelIddEEvPT_PT0_PKS3_S8_ii: ; @_ZN2at6native12_GLOBAL__N_131weight_norm_fwd_last_dim_kernelIddEEvPT_PT0_PKS3_S8_ii
; %bb.0:
	s_load_dword s0, s[4:5], 0x34
	s_load_dwordx2 s[2:3], s[4:5], 0x20
	s_load_dwordx8 s[8:15], s[4:5], 0x0
	s_waitcnt lgkmcnt(0)
	s_and_b32 s17, s0, 0xffff
	s_mul_i32 s6, s6, s17
	v_add_u32_e32 v4, s6, v0
	s_lshr_b32 s16, s0, 16
	v_mad_u64_u32 v[2:3], s[0:1], s2, v1, v[4:5]
	v_cmp_gt_i32_e32 vcc, s2, v4
	v_cmp_gt_i32_e64 s[0:1], s3, v1
	v_mov_b32_e32 v5, 0
	s_and_b64 s[4:5], vcc, s[0:1]
	v_mov_b32_e32 v6, 0
	s_mul_i32 s2, s2, s16
	s_and_saveexec_b64 s[0:1], s[4:5]
	s_cbranch_execz .LBB4_4
; %bb.1:
	v_mov_b32_e32 v5, 0
	v_mov_b32_e32 v6, 0
	s_mov_b64 s[6:7], 0
	v_mov_b32_e32 v3, s13
	v_mov_b32_e32 v9, v1
	;; [unrolled: 1-line block ×3, first 2 shown]
.LBB4_2:                                ; =>This Inner Loop Header: Depth=1
	v_ashrrev_i32_e32 v8, 31, v7
	v_lshlrev_b64 v[10:11], 3, v[7:8]
	v_add_u32_e32 v9, s16, v9
	v_add_co_u32_e32 v10, vcc, s12, v10
	v_addc_co_u32_e32 v11, vcc, v3, v11, vcc
	global_load_dwordx2 v[10:11], v[10:11], off
	v_cmp_le_i32_e32 vcc, s3, v9
	s_or_b64 s[6:7], vcc, s[6:7]
	v_add_u32_e32 v7, s2, v7
	s_waitcnt vmcnt(0)
	v_fma_f64 v[5:6], v[10:11], v[10:11], v[5:6]
	s_andn2_b64 exec, exec, s[6:7]
	s_cbranch_execnz .LBB4_2
; %bb.3:
	s_or_b64 exec, exec, s[6:7]
.LBB4_4:
	s_or_b64 exec, exec, s[0:1]
	s_mul_i32 s18, s16, s17
	v_mad_u32_u24 v7, v1, s17, v0
	s_cmp_gt_i32 s18, 63
	s_cselect_b64 s[6:7], -1, 0
	s_cmp_lt_i32 s18, 64
	v_lshl_add_u32 v3, v7, 3, 0
	s_cbranch_scc1 .LBB4_6
; %bb.5:
	ds_write_b64 v3, v[5:6]
	s_waitcnt lgkmcnt(0)
	s_barrier
.LBB4_6:
	s_ashr_i32 s19, s18, 1
	s_cmp_lt_i32 s19, 64
	s_cbranch_scc0 .LBB4_22
.LBB4_7:
	v_cmp_gt_u32_e32 vcc, 32, v7
	s_and_saveexec_b64 s[0:1], vcc
	s_cbranch_execz .LBB4_15
; %bb.8:
	s_andn2_b64 vcc, exec, s[6:7]
	s_cbranch_vccnz .LBB4_10
; %bb.9:
	ds_read2_b64 v[8:11], v3 offset1:32
	s_waitcnt lgkmcnt(0)
	v_add_f64 v[5:6], v[8:9], v[10:11]
.LBB4_10:
	s_cmp_gt_u32 s17, 16
	s_mov_b32 s6, 16
	s_cbranch_scc1 .LBB4_13
; %bb.11:
	v_mbcnt_lo_u32_b32 v8, -1, 0
	v_mbcnt_hi_u32_b32 v8, -1, v8
	v_and_b32_e32 v9, 63, v8
	v_sub_u32_e32 v9, 64, v9
.LBB4_12:                               ; =>This Inner Loop Header: Depth=1
	v_mov_b32_e32 v10, s6
	v_cmp_lt_u32_e32 vcc, s6, v9
	v_cndmask_b32_e32 v10, 0, v10, vcc
	v_add_lshl_u32 v11, v10, v8, 2
	ds_bpermute_b32 v10, v11, v5
	ds_bpermute_b32 v11, v11, v6
	s_lshr_b32 s6, s6, 1
	s_cmp_lt_u32 s6, s17
	s_waitcnt lgkmcnt(0)
	v_add_f64 v[5:6], v[5:6], v[10:11]
	s_cbranch_scc0 .LBB4_12
.LBB4_13:
	v_cmp_gt_u32_e32 vcc, s17, v7
	s_and_b64 exec, exec, vcc
; %bb.14:
	ds_write_b64 v3, v[5:6]
.LBB4_15:
	s_or_b64 exec, exec, s[0:1]
	s_lshl_b32 s17, s18, 3
	v_cmp_ne_u32_e32 vcc, 0, v1
	v_ashrrev_i32_e32 v5, 31, v4
	s_waitcnt lgkmcnt(0)
	s_barrier
	s_and_saveexec_b64 s[0:1], vcc
	s_xor_b64 s[0:1], exec, s[0:1]
	s_or_saveexec_b64 s[6:7], s[0:1]
	s_add_i32 s17, s17, 0
	s_xor_b64 exec, exec, s[6:7]
	s_cbranch_execz .LBB4_17
; %bb.16:
	v_lshlrev_b32_e32 v3, 3, v0
	v_add_u32_e32 v6, 0, v3
	ds_read_b64 v[6:7], v6
	s_mov_b32 s0, 0xf800000
	v_mov_b32_e32 v8, 0x260
	v_add_u32_e32 v3, s17, v3
	s_waitcnt lgkmcnt(0)
	v_cvt_f32_f64_e32 v6, v[6:7]
	v_mul_f32_e32 v7, 0x4f800000, v6
	v_cmp_gt_f32_e32 vcc, s0, v6
	v_cndmask_b32_e32 v6, v6, v7, vcc
	v_sqrt_f32_e32 v7, v6
	v_add_u32_e32 v9, -1, v7
	v_add_u32_e32 v10, 1, v7
	v_fma_f32 v11, -v9, v7, v6
	v_fma_f32 v12, -v10, v7, v6
	v_cmp_ge_f32_e64 s[0:1], 0, v11
	v_cndmask_b32_e64 v7, v7, v9, s[0:1]
	v_cmp_lt_f32_e64 s[0:1], 0, v12
	v_cndmask_b32_e64 v7, v7, v10, s[0:1]
	v_mul_f32_e32 v9, 0x37800000, v7
	v_cndmask_b32_e32 v7, v7, v9, vcc
	v_cmp_class_f32_e32 vcc, v6, v8
	v_cndmask_b32_e32 v6, v7, v6, vcc
	v_cvt_f64_f32_e32 v[6:7], v6
	v_div_scale_f64 v[8:9], s[0:1], v[6:7], v[6:7], 1.0
	v_div_scale_f64 v[14:15], vcc, 1.0, v[6:7], 1.0
	v_rcp_f64_e32 v[10:11], v[8:9]
	v_fma_f64 v[12:13], -v[8:9], v[10:11], 1.0
	v_fma_f64 v[10:11], v[10:11], v[12:13], v[10:11]
	v_fma_f64 v[12:13], -v[8:9], v[10:11], 1.0
	v_fma_f64 v[10:11], v[10:11], v[12:13], v[10:11]
	v_mul_f64 v[12:13], v[14:15], v[10:11]
	v_fma_f64 v[8:9], -v[8:9], v[12:13], v[14:15]
	v_div_fmas_f64 v[8:9], v[8:9], v[10:11], v[12:13]
	v_lshlrev_b64 v[10:11], 3, v[4:5]
	v_mov_b32_e32 v12, s11
	v_add_co_u32_e32 v10, vcc, s10, v10
	v_addc_co_u32_e32 v11, vcc, v12, v11, vcc
	global_store_dwordx2 v[10:11], v[6:7], off
	v_div_fixup_f64 v[8:9], v[8:9], v[6:7], 1.0
	ds_write_b64 v3, v[8:9]
.LBB4_17:
	s_or_b64 exec, exec, s[6:7]
	s_waitcnt vmcnt(0) lgkmcnt(0)
	s_barrier
	s_and_saveexec_b64 s[0:1], s[4:5]
	s_cbranch_execz .LBB4_20
; %bb.18:
	v_lshlrev_b64 v[3:4], 3, v[4:5]
	v_mov_b32_e32 v5, s15
	v_add_co_u32_e32 v3, vcc, s14, v3
	v_addc_co_u32_e32 v4, vcc, v5, v4, vcc
	global_load_dwordx2 v[4:5], v[3:4], off
	v_lshl_add_u32 v0, v0, 3, s17
	ds_read_b64 v[6:7], v0
	s_mov_b64 s[0:1], 0
	v_mov_b32_e32 v0, s13
	v_mov_b32_e32 v8, s9
.LBB4_19:                               ; =>This Inner Loop Header: Depth=1
	v_ashrrev_i32_e32 v3, 31, v2
	v_lshlrev_b64 v[9:10], 3, v[2:3]
	v_add_u32_e32 v1, s16, v1
	v_add_co_u32_e32 v11, vcc, s12, v9
	v_addc_co_u32_e32 v12, vcc, v0, v10, vcc
	global_load_dwordx2 v[11:12], v[11:12], off
	v_cmp_le_i32_e32 vcc, s3, v1
	s_or_b64 s[0:1], vcc, s[0:1]
	v_add_co_u32_e32 v9, vcc, s8, v9
	v_addc_co_u32_e32 v10, vcc, v8, v10, vcc
	v_add_u32_e32 v2, s2, v2
	s_waitcnt vmcnt(0)
	v_mul_f64 v[11:12], v[4:5], v[11:12]
	s_waitcnt lgkmcnt(0)
	v_mul_f64 v[11:12], v[6:7], v[11:12]
	global_store_dwordx2 v[9:10], v[11:12], off
	s_andn2_b64 exec, exec, s[0:1]
	s_cbranch_execnz .LBB4_19
.LBB4_20:
	s_endpgm
.LBB4_21:                               ;   in Loop: Header=BB4_22 Depth=1
	s_or_b64 exec, exec, s[0:1]
	s_lshr_b32 s0, s19, 1
	s_cmpk_lt_u32 s19, 0x80
	s_mov_b32 s19, s0
	s_waitcnt lgkmcnt(0)
	s_barrier
	s_cbranch_scc1 .LBB4_7
.LBB4_22:                               ; =>This Inner Loop Header: Depth=1
	v_cmp_gt_i32_e32 vcc, s19, v7
	s_and_saveexec_b64 s[0:1], vcc
	s_cbranch_execz .LBB4_21
; %bb.23:                               ;   in Loop: Header=BB4_22 Depth=1
	v_lshl_add_u32 v10, s19, 3, v3
	ds_read_b64 v[8:9], v3
	ds_read_b64 v[10:11], v10
	s_waitcnt lgkmcnt(0)
	v_add_f64 v[8:9], v[8:9], v[10:11]
	ds_write_b64 v3, v[8:9]
	s_branch .LBB4_21
	.section	.rodata,"a",@progbits
	.p2align	6, 0x0
	.amdhsa_kernel _ZN2at6native12_GLOBAL__N_131weight_norm_fwd_last_dim_kernelIddEEvPT_PT0_PKS3_S8_ii
		.amdhsa_group_segment_fixed_size 0
		.amdhsa_private_segment_fixed_size 0
		.amdhsa_kernarg_size 296
		.amdhsa_user_sgpr_count 6
		.amdhsa_user_sgpr_private_segment_buffer 1
		.amdhsa_user_sgpr_dispatch_ptr 0
		.amdhsa_user_sgpr_queue_ptr 0
		.amdhsa_user_sgpr_kernarg_segment_ptr 1
		.amdhsa_user_sgpr_dispatch_id 0
		.amdhsa_user_sgpr_flat_scratch_init 0
		.amdhsa_user_sgpr_private_segment_size 0
		.amdhsa_uses_dynamic_stack 0
		.amdhsa_system_sgpr_private_segment_wavefront_offset 0
		.amdhsa_system_sgpr_workgroup_id_x 1
		.amdhsa_system_sgpr_workgroup_id_y 0
		.amdhsa_system_sgpr_workgroup_id_z 0
		.amdhsa_system_sgpr_workgroup_info 0
		.amdhsa_system_vgpr_workitem_id 1
		.amdhsa_next_free_vgpr 16
		.amdhsa_next_free_sgpr 20
		.amdhsa_reserve_vcc 1
		.amdhsa_reserve_flat_scratch 0
		.amdhsa_float_round_mode_32 0
		.amdhsa_float_round_mode_16_64 0
		.amdhsa_float_denorm_mode_32 3
		.amdhsa_float_denorm_mode_16_64 3
		.amdhsa_dx10_clamp 1
		.amdhsa_ieee_mode 1
		.amdhsa_fp16_overflow 0
		.amdhsa_exception_fp_ieee_invalid_op 0
		.amdhsa_exception_fp_denorm_src 0
		.amdhsa_exception_fp_ieee_div_zero 0
		.amdhsa_exception_fp_ieee_overflow 0
		.amdhsa_exception_fp_ieee_underflow 0
		.amdhsa_exception_fp_ieee_inexact 0
		.amdhsa_exception_int_div_zero 0
	.end_amdhsa_kernel
	.section	.text._ZN2at6native12_GLOBAL__N_131weight_norm_fwd_last_dim_kernelIddEEvPT_PT0_PKS3_S8_ii,"axG",@progbits,_ZN2at6native12_GLOBAL__N_131weight_norm_fwd_last_dim_kernelIddEEvPT_PT0_PKS3_S8_ii,comdat
.Lfunc_end4:
	.size	_ZN2at6native12_GLOBAL__N_131weight_norm_fwd_last_dim_kernelIddEEvPT_PT0_PKS3_S8_ii, .Lfunc_end4-_ZN2at6native12_GLOBAL__N_131weight_norm_fwd_last_dim_kernelIddEEvPT_PT0_PKS3_S8_ii
                                        ; -- End function
	.set _ZN2at6native12_GLOBAL__N_131weight_norm_fwd_last_dim_kernelIddEEvPT_PT0_PKS3_S8_ii.num_vgpr, 16
	.set _ZN2at6native12_GLOBAL__N_131weight_norm_fwd_last_dim_kernelIddEEvPT_PT0_PKS3_S8_ii.num_agpr, 0
	.set _ZN2at6native12_GLOBAL__N_131weight_norm_fwd_last_dim_kernelIddEEvPT_PT0_PKS3_S8_ii.numbered_sgpr, 20
	.set _ZN2at6native12_GLOBAL__N_131weight_norm_fwd_last_dim_kernelIddEEvPT_PT0_PKS3_S8_ii.num_named_barrier, 0
	.set _ZN2at6native12_GLOBAL__N_131weight_norm_fwd_last_dim_kernelIddEEvPT_PT0_PKS3_S8_ii.private_seg_size, 0
	.set _ZN2at6native12_GLOBAL__N_131weight_norm_fwd_last_dim_kernelIddEEvPT_PT0_PKS3_S8_ii.uses_vcc, 1
	.set _ZN2at6native12_GLOBAL__N_131weight_norm_fwd_last_dim_kernelIddEEvPT_PT0_PKS3_S8_ii.uses_flat_scratch, 0
	.set _ZN2at6native12_GLOBAL__N_131weight_norm_fwd_last_dim_kernelIddEEvPT_PT0_PKS3_S8_ii.has_dyn_sized_stack, 0
	.set _ZN2at6native12_GLOBAL__N_131weight_norm_fwd_last_dim_kernelIddEEvPT_PT0_PKS3_S8_ii.has_recursion, 0
	.set _ZN2at6native12_GLOBAL__N_131weight_norm_fwd_last_dim_kernelIddEEvPT_PT0_PKS3_S8_ii.has_indirect_call, 0
	.section	.AMDGPU.csdata,"",@progbits
; Kernel info:
; codeLenInByte = 976
; TotalNumSgprs: 24
; NumVgprs: 16
; ScratchSize: 0
; MemoryBound: 0
; FloatMode: 240
; IeeeMode: 1
; LDSByteSize: 0 bytes/workgroup (compile time only)
; SGPRBlocks: 2
; VGPRBlocks: 3
; NumSGPRsForWavesPerEU: 24
; NumVGPRsForWavesPerEU: 16
; Occupancy: 10
; WaveLimiterHint : 0
; COMPUTE_PGM_RSRC2:SCRATCH_EN: 0
; COMPUTE_PGM_RSRC2:USER_SGPR: 6
; COMPUTE_PGM_RSRC2:TRAP_HANDLER: 0
; COMPUTE_PGM_RSRC2:TGID_X_EN: 1
; COMPUTE_PGM_RSRC2:TGID_Y_EN: 0
; COMPUTE_PGM_RSRC2:TGID_Z_EN: 0
; COMPUTE_PGM_RSRC2:TIDIG_COMP_CNT: 1
	.section	.text._ZN2at6native12_GLOBAL__N_131weight_norm_fwd_last_dim_kernelIffEEvPT_PT0_PKS3_S8_ii,"axG",@progbits,_ZN2at6native12_GLOBAL__N_131weight_norm_fwd_last_dim_kernelIffEEvPT_PT0_PKS3_S8_ii,comdat
	.globl	_ZN2at6native12_GLOBAL__N_131weight_norm_fwd_last_dim_kernelIffEEvPT_PT0_PKS3_S8_ii ; -- Begin function _ZN2at6native12_GLOBAL__N_131weight_norm_fwd_last_dim_kernelIffEEvPT_PT0_PKS3_S8_ii
	.p2align	8
	.type	_ZN2at6native12_GLOBAL__N_131weight_norm_fwd_last_dim_kernelIffEEvPT_PT0_PKS3_S8_ii,@function
_ZN2at6native12_GLOBAL__N_131weight_norm_fwd_last_dim_kernelIffEEvPT_PT0_PKS3_S8_ii: ; @_ZN2at6native12_GLOBAL__N_131weight_norm_fwd_last_dim_kernelIffEEvPT_PT0_PKS3_S8_ii
; %bb.0:
	s_load_dword s0, s[4:5], 0x34
	s_load_dwordx2 s[2:3], s[4:5], 0x20
	s_load_dwordx8 s[8:15], s[4:5], 0x0
	s_waitcnt lgkmcnt(0)
	s_and_b32 s17, s0, 0xffff
	s_mul_i32 s6, s6, s17
	v_add_u32_e32 v4, s6, v0
	s_lshr_b32 s16, s0, 16
	v_mad_u64_u32 v[2:3], s[0:1], s2, v1, v[4:5]
	v_cmp_gt_i32_e32 vcc, s2, v4
	v_cmp_gt_i32_e64 s[0:1], s3, v1
	s_and_b64 s[4:5], vcc, s[0:1]
	v_mov_b32_e32 v3, 0
	s_mul_i32 s2, s2, s16
	s_and_saveexec_b64 s[0:1], s[4:5]
	s_cbranch_execz .LBB5_4
; %bb.1:
	v_mov_b32_e32 v3, 0
	s_mov_b64 s[6:7], 0
	v_mov_b32_e32 v7, s13
	v_mov_b32_e32 v8, v1
	;; [unrolled: 1-line block ×3, first 2 shown]
.LBB5_2:                                ; =>This Inner Loop Header: Depth=1
	v_ashrrev_i32_e32 v6, 31, v5
	v_lshlrev_b64 v[9:10], 2, v[5:6]
	v_add_u32_e32 v8, s16, v8
	v_add_co_u32_e32 v9, vcc, s12, v9
	v_addc_co_u32_e32 v10, vcc, v7, v10, vcc
	global_load_dword v6, v[9:10], off
	v_cmp_le_i32_e32 vcc, s3, v8
	s_or_b64 s[6:7], vcc, s[6:7]
	v_add_u32_e32 v5, s2, v5
	s_waitcnt vmcnt(0)
	v_fmac_f32_e32 v3, v6, v6
	s_andn2_b64 exec, exec, s[6:7]
	s_cbranch_execnz .LBB5_2
; %bb.3:
	s_or_b64 exec, exec, s[6:7]
.LBB5_4:
	s_or_b64 exec, exec, s[0:1]
	s_mul_i32 s18, s16, s17
	v_mad_u32_u24 v6, v1, s17, v0
	s_cmp_gt_i32 s18, 63
	s_cselect_b64 s[6:7], -1, 0
	s_cmp_lt_i32 s18, 64
	v_lshl_add_u32 v5, v6, 2, 0
	s_cbranch_scc1 .LBB5_6
; %bb.5:
	ds_write_b32 v5, v3
	s_waitcnt lgkmcnt(0)
	s_barrier
.LBB5_6:
	s_ashr_i32 s19, s18, 1
	s_cmp_lt_i32 s19, 64
	s_cbranch_scc0 .LBB5_22
.LBB5_7:
	v_cmp_gt_u32_e32 vcc, 32, v6
	s_and_saveexec_b64 s[0:1], vcc
	s_cbranch_execz .LBB5_15
; %bb.8:
	s_andn2_b64 vcc, exec, s[6:7]
	s_cbranch_vccnz .LBB5_10
; %bb.9:
	ds_read2_b32 v[7:8], v5 offset1:32
	s_waitcnt lgkmcnt(0)
	v_add_f32_e32 v3, v7, v8
.LBB5_10:
	s_cmp_gt_u32 s17, 16
	s_mov_b32 s6, 16
	s_cbranch_scc1 .LBB5_13
; %bb.11:
	v_mbcnt_lo_u32_b32 v7, -1, 0
	v_mbcnt_hi_u32_b32 v7, -1, v7
	v_and_b32_e32 v8, 63, v7
	v_sub_u32_e32 v8, 64, v8
.LBB5_12:                               ; =>This Inner Loop Header: Depth=1
	v_mov_b32_e32 v9, s6
	v_cmp_lt_u32_e32 vcc, s6, v8
	v_cndmask_b32_e32 v9, 0, v9, vcc
	v_add_lshl_u32 v9, v9, v7, 2
	ds_bpermute_b32 v9, v9, v3
	s_lshr_b32 s6, s6, 1
	s_cmp_lt_u32 s6, s17
	s_waitcnt lgkmcnt(0)
	v_add_f32_e32 v3, v3, v9
	s_cbranch_scc0 .LBB5_12
.LBB5_13:
	v_cmp_gt_u32_e32 vcc, s17, v6
	s_and_b64 exec, exec, vcc
; %bb.14:
	ds_write_b32 v5, v3
.LBB5_15:
	s_or_b64 exec, exec, s[0:1]
	s_lshl_b32 s17, s18, 2
	v_cmp_ne_u32_e32 vcc, 0, v1
	v_ashrrev_i32_e32 v5, 31, v4
	s_waitcnt lgkmcnt(0)
	s_barrier
	s_and_saveexec_b64 s[0:1], vcc
	s_xor_b64 s[0:1], exec, s[0:1]
	s_or_saveexec_b64 s[6:7], s[0:1]
	s_add_i32 s17, s17, 0
	s_xor_b64 exec, exec, s[6:7]
	s_cbranch_execz .LBB5_17
; %bb.16:
	v_lshlrev_b32_e32 v3, 2, v0
	v_add_u32_e32 v6, 0, v3
	ds_read_b32 v6, v6
	s_mov_b32 s0, 0xf800000
	v_mov_b32_e32 v8, 0x260
	v_add_u32_e32 v3, s17, v3
	s_waitcnt lgkmcnt(0)
	v_mul_f32_e32 v7, 0x4f800000, v6
	v_cmp_gt_f32_e32 vcc, s0, v6
	v_cndmask_b32_e32 v6, v6, v7, vcc
	v_sqrt_f32_e32 v7, v6
	v_add_u32_e32 v9, -1, v7
	v_add_u32_e32 v10, 1, v7
	v_fma_f32 v11, -v9, v7, v6
	v_fma_f32 v12, -v10, v7, v6
	v_cmp_ge_f32_e64 s[0:1], 0, v11
	v_cndmask_b32_e64 v7, v7, v9, s[0:1]
	v_cmp_lt_f32_e64 s[0:1], 0, v12
	v_cndmask_b32_e64 v7, v7, v10, s[0:1]
	v_mul_f32_e32 v9, 0x37800000, v7
	v_cndmask_b32_e32 v7, v7, v9, vcc
	v_cmp_class_f32_e32 vcc, v6, v8
	v_cndmask_b32_e32 v8, v7, v6, vcc
	v_div_scale_f32 v6, s[0:1], v8, v8, 1.0
	v_div_scale_f32 v7, vcc, 1.0, v8, 1.0
	v_rcp_f32_e32 v9, v6
	v_fma_f32 v10, -v6, v9, 1.0
	v_fmac_f32_e32 v9, v10, v9
	v_mul_f32_e32 v10, v7, v9
	v_fma_f32 v11, -v6, v10, v7
	v_fmac_f32_e32 v10, v11, v9
	v_fma_f32 v6, -v6, v10, v7
	v_div_fmas_f32 v9, v6, v9, v10
	v_lshlrev_b64 v[6:7], 2, v[4:5]
	v_mov_b32_e32 v10, s11
	v_add_co_u32_e32 v6, vcc, s10, v6
	v_addc_co_u32_e32 v7, vcc, v10, v7, vcc
	global_store_dword v[6:7], v8, off
	v_div_fixup_f32 v6, v9, v8, 1.0
	ds_write_b32 v3, v6
.LBB5_17:
	s_or_b64 exec, exec, s[6:7]
	s_waitcnt vmcnt(0) lgkmcnt(0)
	s_barrier
	s_and_saveexec_b64 s[0:1], s[4:5]
	s_cbranch_execz .LBB5_20
; %bb.18:
	v_lshlrev_b64 v[3:4], 2, v[4:5]
	v_mov_b32_e32 v5, s15
	v_add_co_u32_e32 v3, vcc, s14, v3
	v_addc_co_u32_e32 v4, vcc, v5, v4, vcc
	global_load_dword v4, v[3:4], off
	v_lshl_add_u32 v0, v0, 2, s17
	ds_read_b32 v0, v0
	s_mov_b64 s[0:1], 0
	v_mov_b32_e32 v5, s13
	v_mov_b32_e32 v6, s9
.LBB5_19:                               ; =>This Inner Loop Header: Depth=1
	v_ashrrev_i32_e32 v3, 31, v2
	v_lshlrev_b64 v[7:8], 2, v[2:3]
	v_add_u32_e32 v1, s16, v1
	v_add_co_u32_e32 v9, vcc, s12, v7
	v_addc_co_u32_e32 v10, vcc, v5, v8, vcc
	global_load_dword v3, v[9:10], off
	v_cmp_le_i32_e32 vcc, s3, v1
	s_or_b64 s[0:1], vcc, s[0:1]
	v_add_co_u32_e32 v7, vcc, s8, v7
	v_addc_co_u32_e32 v8, vcc, v6, v8, vcc
	v_add_u32_e32 v2, s2, v2
	s_waitcnt vmcnt(0)
	v_mul_f32_e32 v3, v4, v3
	s_waitcnt lgkmcnt(0)
	v_mul_f32_e32 v3, v0, v3
	global_store_dword v[7:8], v3, off
	s_andn2_b64 exec, exec, s[0:1]
	s_cbranch_execnz .LBB5_19
.LBB5_20:
	s_endpgm
.LBB5_21:                               ;   in Loop: Header=BB5_22 Depth=1
	s_or_b64 exec, exec, s[0:1]
	s_lshr_b32 s0, s19, 1
	s_cmpk_lt_u32 s19, 0x80
	s_mov_b32 s19, s0
	s_waitcnt lgkmcnt(0)
	s_barrier
	s_cbranch_scc1 .LBB5_7
.LBB5_22:                               ; =>This Inner Loop Header: Depth=1
	v_cmp_gt_i32_e32 vcc, s19, v6
	s_and_saveexec_b64 s[0:1], vcc
	s_cbranch_execz .LBB5_21
; %bb.23:                               ;   in Loop: Header=BB5_22 Depth=1
	v_lshl_add_u32 v7, s19, 2, v5
	ds_read_b32 v8, v5
	ds_read_b32 v7, v7
	s_waitcnt lgkmcnt(0)
	v_add_f32_e32 v7, v8, v7
	ds_write_b32 v5, v7
	s_branch .LBB5_21
	.section	.rodata,"a",@progbits
	.p2align	6, 0x0
	.amdhsa_kernel _ZN2at6native12_GLOBAL__N_131weight_norm_fwd_last_dim_kernelIffEEvPT_PT0_PKS3_S8_ii
		.amdhsa_group_segment_fixed_size 0
		.amdhsa_private_segment_fixed_size 0
		.amdhsa_kernarg_size 296
		.amdhsa_user_sgpr_count 6
		.amdhsa_user_sgpr_private_segment_buffer 1
		.amdhsa_user_sgpr_dispatch_ptr 0
		.amdhsa_user_sgpr_queue_ptr 0
		.amdhsa_user_sgpr_kernarg_segment_ptr 1
		.amdhsa_user_sgpr_dispatch_id 0
		.amdhsa_user_sgpr_flat_scratch_init 0
		.amdhsa_user_sgpr_private_segment_size 0
		.amdhsa_uses_dynamic_stack 0
		.amdhsa_system_sgpr_private_segment_wavefront_offset 0
		.amdhsa_system_sgpr_workgroup_id_x 1
		.amdhsa_system_sgpr_workgroup_id_y 0
		.amdhsa_system_sgpr_workgroup_id_z 0
		.amdhsa_system_sgpr_workgroup_info 0
		.amdhsa_system_vgpr_workitem_id 1
		.amdhsa_next_free_vgpr 13
		.amdhsa_next_free_sgpr 20
		.amdhsa_reserve_vcc 1
		.amdhsa_reserve_flat_scratch 0
		.amdhsa_float_round_mode_32 0
		.amdhsa_float_round_mode_16_64 0
		.amdhsa_float_denorm_mode_32 3
		.amdhsa_float_denorm_mode_16_64 3
		.amdhsa_dx10_clamp 1
		.amdhsa_ieee_mode 1
		.amdhsa_fp16_overflow 0
		.amdhsa_exception_fp_ieee_invalid_op 0
		.amdhsa_exception_fp_denorm_src 0
		.amdhsa_exception_fp_ieee_div_zero 0
		.amdhsa_exception_fp_ieee_overflow 0
		.amdhsa_exception_fp_ieee_underflow 0
		.amdhsa_exception_fp_ieee_inexact 0
		.amdhsa_exception_int_div_zero 0
	.end_amdhsa_kernel
	.section	.text._ZN2at6native12_GLOBAL__N_131weight_norm_fwd_last_dim_kernelIffEEvPT_PT0_PKS3_S8_ii,"axG",@progbits,_ZN2at6native12_GLOBAL__N_131weight_norm_fwd_last_dim_kernelIffEEvPT_PT0_PKS3_S8_ii,comdat
.Lfunc_end5:
	.size	_ZN2at6native12_GLOBAL__N_131weight_norm_fwd_last_dim_kernelIffEEvPT_PT0_PKS3_S8_ii, .Lfunc_end5-_ZN2at6native12_GLOBAL__N_131weight_norm_fwd_last_dim_kernelIffEEvPT_PT0_PKS3_S8_ii
                                        ; -- End function
	.set _ZN2at6native12_GLOBAL__N_131weight_norm_fwd_last_dim_kernelIffEEvPT_PT0_PKS3_S8_ii.num_vgpr, 13
	.set _ZN2at6native12_GLOBAL__N_131weight_norm_fwd_last_dim_kernelIffEEvPT_PT0_PKS3_S8_ii.num_agpr, 0
	.set _ZN2at6native12_GLOBAL__N_131weight_norm_fwd_last_dim_kernelIffEEvPT_PT0_PKS3_S8_ii.numbered_sgpr, 20
	.set _ZN2at6native12_GLOBAL__N_131weight_norm_fwd_last_dim_kernelIffEEvPT_PT0_PKS3_S8_ii.num_named_barrier, 0
	.set _ZN2at6native12_GLOBAL__N_131weight_norm_fwd_last_dim_kernelIffEEvPT_PT0_PKS3_S8_ii.private_seg_size, 0
	.set _ZN2at6native12_GLOBAL__N_131weight_norm_fwd_last_dim_kernelIffEEvPT_PT0_PKS3_S8_ii.uses_vcc, 1
	.set _ZN2at6native12_GLOBAL__N_131weight_norm_fwd_last_dim_kernelIffEEvPT_PT0_PKS3_S8_ii.uses_flat_scratch, 0
	.set _ZN2at6native12_GLOBAL__N_131weight_norm_fwd_last_dim_kernelIffEEvPT_PT0_PKS3_S8_ii.has_dyn_sized_stack, 0
	.set _ZN2at6native12_GLOBAL__N_131weight_norm_fwd_last_dim_kernelIffEEvPT_PT0_PKS3_S8_ii.has_recursion, 0
	.set _ZN2at6native12_GLOBAL__N_131weight_norm_fwd_last_dim_kernelIffEEvPT_PT0_PKS3_S8_ii.has_indirect_call, 0
	.section	.AMDGPU.csdata,"",@progbits
; Kernel info:
; codeLenInByte = 916
; TotalNumSgprs: 24
; NumVgprs: 13
; ScratchSize: 0
; MemoryBound: 0
; FloatMode: 240
; IeeeMode: 1
; LDSByteSize: 0 bytes/workgroup (compile time only)
; SGPRBlocks: 2
; VGPRBlocks: 3
; NumSGPRsForWavesPerEU: 24
; NumVGPRsForWavesPerEU: 13
; Occupancy: 10
; WaveLimiterHint : 0
; COMPUTE_PGM_RSRC2:SCRATCH_EN: 0
; COMPUTE_PGM_RSRC2:USER_SGPR: 6
; COMPUTE_PGM_RSRC2:TRAP_HANDLER: 0
; COMPUTE_PGM_RSRC2:TGID_X_EN: 1
; COMPUTE_PGM_RSRC2:TGID_Y_EN: 0
; COMPUTE_PGM_RSRC2:TGID_Z_EN: 0
; COMPUTE_PGM_RSRC2:TIDIG_COMP_CNT: 1
	.section	.text._ZN2at6native12_GLOBAL__N_131weight_norm_fwd_last_dim_kernelIN3c108BFloat16EfEEvPT_PT0_PKS5_SA_ii,"axG",@progbits,_ZN2at6native12_GLOBAL__N_131weight_norm_fwd_last_dim_kernelIN3c108BFloat16EfEEvPT_PT0_PKS5_SA_ii,comdat
	.globl	_ZN2at6native12_GLOBAL__N_131weight_norm_fwd_last_dim_kernelIN3c108BFloat16EfEEvPT_PT0_PKS5_SA_ii ; -- Begin function _ZN2at6native12_GLOBAL__N_131weight_norm_fwd_last_dim_kernelIN3c108BFloat16EfEEvPT_PT0_PKS5_SA_ii
	.p2align	8
	.type	_ZN2at6native12_GLOBAL__N_131weight_norm_fwd_last_dim_kernelIN3c108BFloat16EfEEvPT_PT0_PKS5_SA_ii,@function
_ZN2at6native12_GLOBAL__N_131weight_norm_fwd_last_dim_kernelIN3c108BFloat16EfEEvPT_PT0_PKS5_SA_ii: ; @_ZN2at6native12_GLOBAL__N_131weight_norm_fwd_last_dim_kernelIN3c108BFloat16EfEEvPT_PT0_PKS5_SA_ii
; %bb.0:
	s_load_dword s0, s[4:5], 0x34
	s_load_dwordx2 s[2:3], s[4:5], 0x20
	s_load_dwordx8 s[8:15], s[4:5], 0x0
	s_waitcnt lgkmcnt(0)
	s_and_b32 s17, s0, 0xffff
	s_mul_i32 s6, s6, s17
	v_add_u32_e32 v4, s6, v0
	s_lshr_b32 s16, s0, 16
	v_mad_u64_u32 v[2:3], s[0:1], s2, v1, v[4:5]
	v_cmp_gt_i32_e32 vcc, s2, v4
	v_cmp_gt_i32_e64 s[0:1], s3, v1
	s_and_b64 s[4:5], vcc, s[0:1]
	v_mov_b32_e32 v3, 0
	s_mul_i32 s2, s2, s16
	s_and_saveexec_b64 s[0:1], s[4:5]
	s_cbranch_execz .LBB6_4
; %bb.1:
	v_mov_b32_e32 v3, 0
	s_mov_b64 s[6:7], 0
	v_mov_b32_e32 v7, s13
	v_mov_b32_e32 v8, v1
	;; [unrolled: 1-line block ×3, first 2 shown]
.LBB6_2:                                ; =>This Inner Loop Header: Depth=1
	v_ashrrev_i32_e32 v6, 31, v5
	v_lshlrev_b64 v[9:10], 1, v[5:6]
	v_add_u32_e32 v8, s16, v8
	v_add_co_u32_e32 v9, vcc, s12, v9
	v_addc_co_u32_e32 v10, vcc, v7, v10, vcc
	global_load_ushort v6, v[9:10], off
	v_cmp_le_i32_e32 vcc, s3, v8
	s_or_b64 s[6:7], vcc, s[6:7]
	v_add_u32_e32 v5, s2, v5
	s_waitcnt vmcnt(0)
	v_lshlrev_b32_e32 v6, 16, v6
	v_fmac_f32_e32 v3, v6, v6
	s_andn2_b64 exec, exec, s[6:7]
	s_cbranch_execnz .LBB6_2
; %bb.3:
	s_or_b64 exec, exec, s[6:7]
.LBB6_4:
	s_or_b64 exec, exec, s[0:1]
	s_mul_i32 s18, s16, s17
	v_mad_u32_u24 v6, v1, s17, v0
	s_cmp_gt_i32 s18, 63
	s_cselect_b64 s[6:7], -1, 0
	s_cmp_lt_i32 s18, 64
	v_lshl_add_u32 v5, v6, 2, 0
	s_cbranch_scc1 .LBB6_6
; %bb.5:
	ds_write_b32 v5, v3
	s_waitcnt lgkmcnt(0)
	s_barrier
.LBB6_6:
	s_ashr_i32 s19, s18, 1
	s_cmp_lt_i32 s19, 64
	s_cbranch_scc0 .LBB6_22
.LBB6_7:
	v_cmp_gt_u32_e32 vcc, 32, v6
	s_and_saveexec_b64 s[0:1], vcc
	s_cbranch_execz .LBB6_15
; %bb.8:
	s_andn2_b64 vcc, exec, s[6:7]
	s_cbranch_vccnz .LBB6_10
; %bb.9:
	ds_read2_b32 v[7:8], v5 offset1:32
	s_waitcnt lgkmcnt(0)
	v_add_f32_e32 v3, v7, v8
.LBB6_10:
	s_cmp_gt_u32 s17, 16
	s_mov_b32 s6, 16
	s_cbranch_scc1 .LBB6_13
; %bb.11:
	v_mbcnt_lo_u32_b32 v7, -1, 0
	v_mbcnt_hi_u32_b32 v7, -1, v7
	v_and_b32_e32 v8, 63, v7
	v_sub_u32_e32 v8, 64, v8
.LBB6_12:                               ; =>This Inner Loop Header: Depth=1
	v_mov_b32_e32 v9, s6
	v_cmp_lt_u32_e32 vcc, s6, v8
	v_cndmask_b32_e32 v9, 0, v9, vcc
	v_add_lshl_u32 v9, v9, v7, 2
	ds_bpermute_b32 v9, v9, v3
	s_lshr_b32 s6, s6, 1
	s_cmp_lt_u32 s6, s17
	s_waitcnt lgkmcnt(0)
	v_add_f32_e32 v3, v3, v9
	s_cbranch_scc0 .LBB6_12
.LBB6_13:
	v_cmp_gt_u32_e32 vcc, s17, v6
	s_and_b64 exec, exec, vcc
; %bb.14:
	ds_write_b32 v5, v3
.LBB6_15:
	s_or_b64 exec, exec, s[0:1]
	s_lshl_b32 s17, s18, 2
	v_cmp_ne_u32_e32 vcc, 0, v1
	v_ashrrev_i32_e32 v5, 31, v4
	s_waitcnt lgkmcnt(0)
	s_barrier
	s_and_saveexec_b64 s[0:1], vcc
	s_xor_b64 s[0:1], exec, s[0:1]
	s_or_saveexec_b64 s[6:7], s[0:1]
	s_add_i32 s17, s17, 0
	s_xor_b64 exec, exec, s[6:7]
	s_cbranch_execz .LBB6_17
; %bb.16:
	v_lshlrev_b32_e32 v3, 2, v0
	v_add_u32_e32 v6, 0, v3
	ds_read_b32 v6, v6
	s_mov_b32 s0, 0xf800000
	v_mov_b32_e32 v8, 0x260
	v_add_u32_e32 v3, s17, v3
	s_waitcnt lgkmcnt(0)
	v_mul_f32_e32 v7, 0x4f800000, v6
	v_cmp_gt_f32_e32 vcc, s0, v6
	v_cndmask_b32_e32 v6, v6, v7, vcc
	v_sqrt_f32_e32 v7, v6
	v_add_u32_e32 v9, -1, v7
	v_add_u32_e32 v10, 1, v7
	v_fma_f32 v11, -v9, v7, v6
	v_fma_f32 v12, -v10, v7, v6
	v_cmp_ge_f32_e64 s[0:1], 0, v11
	v_cndmask_b32_e64 v7, v7, v9, s[0:1]
	v_cmp_lt_f32_e64 s[0:1], 0, v12
	v_cndmask_b32_e64 v7, v7, v10, s[0:1]
	v_mul_f32_e32 v9, 0x37800000, v7
	v_cndmask_b32_e32 v7, v7, v9, vcc
	v_cmp_class_f32_e32 vcc, v6, v8
	v_cndmask_b32_e32 v8, v7, v6, vcc
	v_div_scale_f32 v6, s[0:1], v8, v8, 1.0
	v_div_scale_f32 v7, vcc, 1.0, v8, 1.0
	v_rcp_f32_e32 v9, v6
	v_fma_f32 v10, -v6, v9, 1.0
	v_fmac_f32_e32 v9, v10, v9
	v_mul_f32_e32 v10, v7, v9
	v_fma_f32 v11, -v6, v10, v7
	v_fmac_f32_e32 v10, v11, v9
	v_fma_f32 v6, -v6, v10, v7
	v_div_fmas_f32 v9, v6, v9, v10
	v_lshlrev_b64 v[6:7], 2, v[4:5]
	v_mov_b32_e32 v10, s11
	v_add_co_u32_e32 v6, vcc, s10, v6
	v_addc_co_u32_e32 v7, vcc, v10, v7, vcc
	global_store_dword v[6:7], v8, off
	v_div_fixup_f32 v6, v9, v8, 1.0
	ds_write_b32 v3, v6
.LBB6_17:
	s_or_b64 exec, exec, s[6:7]
	s_waitcnt vmcnt(0) lgkmcnt(0)
	s_barrier
	s_and_saveexec_b64 s[0:1], s[4:5]
	s_cbranch_execz .LBB6_20
; %bb.18:
	v_lshlrev_b64 v[3:4], 1, v[4:5]
	v_mov_b32_e32 v5, s15
	v_add_co_u32_e32 v3, vcc, s14, v3
	v_addc_co_u32_e32 v4, vcc, v5, v4, vcc
	global_load_ushort v3, v[3:4], off
	v_lshl_add_u32 v4, v0, 2, s17
	ds_read_b32 v4, v4
	s_mov_b64 s[0:1], 0
	v_mov_b32_e32 v0, s13
	s_movk_i32 s4, 0x7fff
	v_mov_b32_e32 v5, 0x7fc0
	v_mov_b32_e32 v7, s9
	s_waitcnt vmcnt(0)
	v_lshlrev_b32_e32 v6, 16, v3
.LBB6_19:                               ; =>This Inner Loop Header: Depth=1
	v_ashrrev_i32_e32 v3, 31, v2
	v_lshlrev_b64 v[8:9], 1, v[2:3]
	v_add_u32_e32 v1, s16, v1
	v_add_co_u32_e32 v10, vcc, s12, v8
	v_addc_co_u32_e32 v11, vcc, v0, v9, vcc
	global_load_ushort v3, v[10:11], off
	v_cmp_le_i32_e32 vcc, s3, v1
	s_or_b64 s[0:1], vcc, s[0:1]
	v_add_co_u32_e32 v8, vcc, s8, v8
	v_addc_co_u32_e32 v9, vcc, v7, v9, vcc
	v_add_u32_e32 v2, s2, v2
	s_waitcnt vmcnt(0)
	v_lshlrev_b32_e32 v3, 16, v3
	v_mul_f32_e32 v3, v6, v3
	s_waitcnt lgkmcnt(0)
	v_mul_f32_e32 v3, v4, v3
	v_bfe_u32 v10, v3, 16, 1
	v_add3_u32 v10, v3, v10, s4
	v_lshrrev_b32_e32 v10, 16, v10
	v_cmp_o_f32_e32 vcc, v3, v3
	v_cndmask_b32_e32 v3, v5, v10, vcc
	global_store_short v[8:9], v3, off
	s_andn2_b64 exec, exec, s[0:1]
	s_cbranch_execnz .LBB6_19
.LBB6_20:
	s_endpgm
.LBB6_21:                               ;   in Loop: Header=BB6_22 Depth=1
	s_or_b64 exec, exec, s[0:1]
	s_lshr_b32 s0, s19, 1
	s_cmpk_lt_u32 s19, 0x80
	s_mov_b32 s19, s0
	s_waitcnt lgkmcnt(0)
	s_barrier
	s_cbranch_scc1 .LBB6_7
.LBB6_22:                               ; =>This Inner Loop Header: Depth=1
	v_cmp_gt_i32_e32 vcc, s19, v6
	s_and_saveexec_b64 s[0:1], vcc
	s_cbranch_execz .LBB6_21
; %bb.23:                               ;   in Loop: Header=BB6_22 Depth=1
	v_lshl_add_u32 v7, s19, 2, v5
	ds_read_b32 v8, v5
	ds_read_b32 v7, v7
	s_waitcnt lgkmcnt(0)
	v_add_f32_e32 v7, v8, v7
	ds_write_b32 v5, v7
	s_branch .LBB6_21
	.section	.rodata,"a",@progbits
	.p2align	6, 0x0
	.amdhsa_kernel _ZN2at6native12_GLOBAL__N_131weight_norm_fwd_last_dim_kernelIN3c108BFloat16EfEEvPT_PT0_PKS5_SA_ii
		.amdhsa_group_segment_fixed_size 0
		.amdhsa_private_segment_fixed_size 0
		.amdhsa_kernarg_size 296
		.amdhsa_user_sgpr_count 6
		.amdhsa_user_sgpr_private_segment_buffer 1
		.amdhsa_user_sgpr_dispatch_ptr 0
		.amdhsa_user_sgpr_queue_ptr 0
		.amdhsa_user_sgpr_kernarg_segment_ptr 1
		.amdhsa_user_sgpr_dispatch_id 0
		.amdhsa_user_sgpr_flat_scratch_init 0
		.amdhsa_user_sgpr_private_segment_size 0
		.amdhsa_uses_dynamic_stack 0
		.amdhsa_system_sgpr_private_segment_wavefront_offset 0
		.amdhsa_system_sgpr_workgroup_id_x 1
		.amdhsa_system_sgpr_workgroup_id_y 0
		.amdhsa_system_sgpr_workgroup_id_z 0
		.amdhsa_system_sgpr_workgroup_info 0
		.amdhsa_system_vgpr_workitem_id 1
		.amdhsa_next_free_vgpr 13
		.amdhsa_next_free_sgpr 20
		.amdhsa_reserve_vcc 1
		.amdhsa_reserve_flat_scratch 0
		.amdhsa_float_round_mode_32 0
		.amdhsa_float_round_mode_16_64 0
		.amdhsa_float_denorm_mode_32 3
		.amdhsa_float_denorm_mode_16_64 3
		.amdhsa_dx10_clamp 1
		.amdhsa_ieee_mode 1
		.amdhsa_fp16_overflow 0
		.amdhsa_exception_fp_ieee_invalid_op 0
		.amdhsa_exception_fp_denorm_src 0
		.amdhsa_exception_fp_ieee_div_zero 0
		.amdhsa_exception_fp_ieee_overflow 0
		.amdhsa_exception_fp_ieee_underflow 0
		.amdhsa_exception_fp_ieee_inexact 0
		.amdhsa_exception_int_div_zero 0
	.end_amdhsa_kernel
	.section	.text._ZN2at6native12_GLOBAL__N_131weight_norm_fwd_last_dim_kernelIN3c108BFloat16EfEEvPT_PT0_PKS5_SA_ii,"axG",@progbits,_ZN2at6native12_GLOBAL__N_131weight_norm_fwd_last_dim_kernelIN3c108BFloat16EfEEvPT_PT0_PKS5_SA_ii,comdat
.Lfunc_end6:
	.size	_ZN2at6native12_GLOBAL__N_131weight_norm_fwd_last_dim_kernelIN3c108BFloat16EfEEvPT_PT0_PKS5_SA_ii, .Lfunc_end6-_ZN2at6native12_GLOBAL__N_131weight_norm_fwd_last_dim_kernelIN3c108BFloat16EfEEvPT_PT0_PKS5_SA_ii
                                        ; -- End function
	.set _ZN2at6native12_GLOBAL__N_131weight_norm_fwd_last_dim_kernelIN3c108BFloat16EfEEvPT_PT0_PKS5_SA_ii.num_vgpr, 13
	.set _ZN2at6native12_GLOBAL__N_131weight_norm_fwd_last_dim_kernelIN3c108BFloat16EfEEvPT_PT0_PKS5_SA_ii.num_agpr, 0
	.set _ZN2at6native12_GLOBAL__N_131weight_norm_fwd_last_dim_kernelIN3c108BFloat16EfEEvPT_PT0_PKS5_SA_ii.numbered_sgpr, 20
	.set _ZN2at6native12_GLOBAL__N_131weight_norm_fwd_last_dim_kernelIN3c108BFloat16EfEEvPT_PT0_PKS5_SA_ii.num_named_barrier, 0
	.set _ZN2at6native12_GLOBAL__N_131weight_norm_fwd_last_dim_kernelIN3c108BFloat16EfEEvPT_PT0_PKS5_SA_ii.private_seg_size, 0
	.set _ZN2at6native12_GLOBAL__N_131weight_norm_fwd_last_dim_kernelIN3c108BFloat16EfEEvPT_PT0_PKS5_SA_ii.uses_vcc, 1
	.set _ZN2at6native12_GLOBAL__N_131weight_norm_fwd_last_dim_kernelIN3c108BFloat16EfEEvPT_PT0_PKS5_SA_ii.uses_flat_scratch, 0
	.set _ZN2at6native12_GLOBAL__N_131weight_norm_fwd_last_dim_kernelIN3c108BFloat16EfEEvPT_PT0_PKS5_SA_ii.has_dyn_sized_stack, 0
	.set _ZN2at6native12_GLOBAL__N_131weight_norm_fwd_last_dim_kernelIN3c108BFloat16EfEEvPT_PT0_PKS5_SA_ii.has_recursion, 0
	.set _ZN2at6native12_GLOBAL__N_131weight_norm_fwd_last_dim_kernelIN3c108BFloat16EfEEvPT_PT0_PKS5_SA_ii.has_indirect_call, 0
	.section	.AMDGPU.csdata,"",@progbits
; Kernel info:
; codeLenInByte = 972
; TotalNumSgprs: 24
; NumVgprs: 13
; ScratchSize: 0
; MemoryBound: 0
; FloatMode: 240
; IeeeMode: 1
; LDSByteSize: 0 bytes/workgroup (compile time only)
; SGPRBlocks: 2
; VGPRBlocks: 3
; NumSGPRsForWavesPerEU: 24
; NumVGPRsForWavesPerEU: 13
; Occupancy: 10
; WaveLimiterHint : 0
; COMPUTE_PGM_RSRC2:SCRATCH_EN: 0
; COMPUTE_PGM_RSRC2:USER_SGPR: 6
; COMPUTE_PGM_RSRC2:TRAP_HANDLER: 0
; COMPUTE_PGM_RSRC2:TGID_X_EN: 1
; COMPUTE_PGM_RSRC2:TGID_Y_EN: 0
; COMPUTE_PGM_RSRC2:TGID_Z_EN: 0
; COMPUTE_PGM_RSRC2:TIDIG_COMP_CNT: 1
	.section	.text._ZN2at6native12_GLOBAL__N_131weight_norm_fwd_last_dim_kernelIN3c104HalfEfEEvPT_PT0_PKS5_SA_ii,"axG",@progbits,_ZN2at6native12_GLOBAL__N_131weight_norm_fwd_last_dim_kernelIN3c104HalfEfEEvPT_PT0_PKS5_SA_ii,comdat
	.globl	_ZN2at6native12_GLOBAL__N_131weight_norm_fwd_last_dim_kernelIN3c104HalfEfEEvPT_PT0_PKS5_SA_ii ; -- Begin function _ZN2at6native12_GLOBAL__N_131weight_norm_fwd_last_dim_kernelIN3c104HalfEfEEvPT_PT0_PKS5_SA_ii
	.p2align	8
	.type	_ZN2at6native12_GLOBAL__N_131weight_norm_fwd_last_dim_kernelIN3c104HalfEfEEvPT_PT0_PKS5_SA_ii,@function
_ZN2at6native12_GLOBAL__N_131weight_norm_fwd_last_dim_kernelIN3c104HalfEfEEvPT_PT0_PKS5_SA_ii: ; @_ZN2at6native12_GLOBAL__N_131weight_norm_fwd_last_dim_kernelIN3c104HalfEfEEvPT_PT0_PKS5_SA_ii
; %bb.0:
	s_load_dword s0, s[4:5], 0x34
	s_load_dwordx2 s[2:3], s[4:5], 0x20
	s_load_dwordx8 s[8:15], s[4:5], 0x0
	s_waitcnt lgkmcnt(0)
	s_and_b32 s17, s0, 0xffff
	s_mul_i32 s6, s6, s17
	v_add_u32_e32 v4, s6, v0
	s_lshr_b32 s16, s0, 16
	v_mad_u64_u32 v[2:3], s[0:1], s2, v1, v[4:5]
	v_cmp_gt_i32_e32 vcc, s2, v4
	v_cmp_gt_i32_e64 s[0:1], s3, v1
	s_and_b64 s[4:5], vcc, s[0:1]
	v_mov_b32_e32 v3, 0
	s_mul_i32 s2, s2, s16
	s_and_saveexec_b64 s[0:1], s[4:5]
	s_cbranch_execz .LBB7_4
; %bb.1:
	v_mov_b32_e32 v3, 0
	s_mov_b64 s[6:7], 0
	v_mov_b32_e32 v7, s13
	v_mov_b32_e32 v8, v1
	;; [unrolled: 1-line block ×3, first 2 shown]
.LBB7_2:                                ; =>This Inner Loop Header: Depth=1
	v_ashrrev_i32_e32 v6, 31, v5
	v_lshlrev_b64 v[9:10], 1, v[5:6]
	v_add_u32_e32 v8, s16, v8
	v_add_co_u32_e32 v9, vcc, s12, v9
	v_addc_co_u32_e32 v10, vcc, v7, v10, vcc
	global_load_ushort v6, v[9:10], off
	v_cmp_le_i32_e32 vcc, s3, v8
	s_or_b64 s[6:7], vcc, s[6:7]
	v_add_u32_e32 v5, s2, v5
	s_waitcnt vmcnt(0)
	v_fma_mix_f32 v3, v6, v6, v3 op_sel_hi:[1,1,0]
	s_andn2_b64 exec, exec, s[6:7]
	s_cbranch_execnz .LBB7_2
; %bb.3:
	s_or_b64 exec, exec, s[6:7]
.LBB7_4:
	s_or_b64 exec, exec, s[0:1]
	s_mul_i32 s18, s16, s17
	v_mad_u32_u24 v6, v1, s17, v0
	s_cmp_gt_i32 s18, 63
	s_cselect_b64 s[6:7], -1, 0
	s_cmp_lt_i32 s18, 64
	v_lshl_add_u32 v5, v6, 2, 0
	s_cbranch_scc1 .LBB7_6
; %bb.5:
	ds_write_b32 v5, v3
	s_waitcnt lgkmcnt(0)
	s_barrier
.LBB7_6:
	s_ashr_i32 s19, s18, 1
	s_cmp_lt_i32 s19, 64
	s_cbranch_scc0 .LBB7_22
.LBB7_7:
	v_cmp_gt_u32_e32 vcc, 32, v6
	s_and_saveexec_b64 s[0:1], vcc
	s_cbranch_execz .LBB7_15
; %bb.8:
	s_andn2_b64 vcc, exec, s[6:7]
	s_cbranch_vccnz .LBB7_10
; %bb.9:
	ds_read2_b32 v[7:8], v5 offset1:32
	s_waitcnt lgkmcnt(0)
	v_add_f32_e32 v3, v7, v8
.LBB7_10:
	s_cmp_gt_u32 s17, 16
	s_mov_b32 s6, 16
	s_cbranch_scc1 .LBB7_13
; %bb.11:
	v_mbcnt_lo_u32_b32 v7, -1, 0
	v_mbcnt_hi_u32_b32 v7, -1, v7
	v_and_b32_e32 v8, 63, v7
	v_sub_u32_e32 v8, 64, v8
.LBB7_12:                               ; =>This Inner Loop Header: Depth=1
	v_mov_b32_e32 v9, s6
	v_cmp_lt_u32_e32 vcc, s6, v8
	v_cndmask_b32_e32 v9, 0, v9, vcc
	v_add_lshl_u32 v9, v9, v7, 2
	ds_bpermute_b32 v9, v9, v3
	s_lshr_b32 s6, s6, 1
	s_cmp_lt_u32 s6, s17
	s_waitcnt lgkmcnt(0)
	v_add_f32_e32 v3, v3, v9
	s_cbranch_scc0 .LBB7_12
.LBB7_13:
	v_cmp_gt_u32_e32 vcc, s17, v6
	s_and_b64 exec, exec, vcc
; %bb.14:
	ds_write_b32 v5, v3
.LBB7_15:
	s_or_b64 exec, exec, s[0:1]
	s_lshl_b32 s17, s18, 2
	v_cmp_ne_u32_e32 vcc, 0, v1
	v_ashrrev_i32_e32 v5, 31, v4
	s_waitcnt lgkmcnt(0)
	s_barrier
	s_and_saveexec_b64 s[0:1], vcc
	s_xor_b64 s[0:1], exec, s[0:1]
	s_or_saveexec_b64 s[6:7], s[0:1]
	s_add_i32 s17, s17, 0
	s_xor_b64 exec, exec, s[6:7]
	s_cbranch_execz .LBB7_17
; %bb.16:
	v_lshlrev_b32_e32 v3, 2, v0
	v_add_u32_e32 v6, 0, v3
	ds_read_b32 v6, v6
	s_mov_b32 s0, 0xf800000
	v_mov_b32_e32 v8, 0x260
	v_add_u32_e32 v3, s17, v3
	s_waitcnt lgkmcnt(0)
	v_mul_f32_e32 v7, 0x4f800000, v6
	v_cmp_gt_f32_e32 vcc, s0, v6
	v_cndmask_b32_e32 v6, v6, v7, vcc
	v_sqrt_f32_e32 v7, v6
	v_add_u32_e32 v9, -1, v7
	v_add_u32_e32 v10, 1, v7
	v_fma_f32 v11, -v9, v7, v6
	v_fma_f32 v12, -v10, v7, v6
	v_cmp_ge_f32_e64 s[0:1], 0, v11
	v_cndmask_b32_e64 v7, v7, v9, s[0:1]
	v_cmp_lt_f32_e64 s[0:1], 0, v12
	v_cndmask_b32_e64 v7, v7, v10, s[0:1]
	v_mul_f32_e32 v9, 0x37800000, v7
	v_cndmask_b32_e32 v7, v7, v9, vcc
	v_cmp_class_f32_e32 vcc, v6, v8
	v_cndmask_b32_e32 v8, v7, v6, vcc
	v_div_scale_f32 v6, s[0:1], v8, v8, 1.0
	v_div_scale_f32 v7, vcc, 1.0, v8, 1.0
	v_rcp_f32_e32 v9, v6
	v_fma_f32 v10, -v6, v9, 1.0
	v_fmac_f32_e32 v9, v10, v9
	v_mul_f32_e32 v10, v7, v9
	v_fma_f32 v11, -v6, v10, v7
	v_fmac_f32_e32 v10, v11, v9
	v_fma_f32 v6, -v6, v10, v7
	v_div_fmas_f32 v9, v6, v9, v10
	v_lshlrev_b64 v[6:7], 2, v[4:5]
	v_mov_b32_e32 v10, s11
	v_add_co_u32_e32 v6, vcc, s10, v6
	v_addc_co_u32_e32 v7, vcc, v10, v7, vcc
	global_store_dword v[6:7], v8, off
	v_div_fixup_f32 v6, v9, v8, 1.0
	ds_write_b32 v3, v6
.LBB7_17:
	s_or_b64 exec, exec, s[6:7]
	s_waitcnt vmcnt(0) lgkmcnt(0)
	s_barrier
	s_and_saveexec_b64 s[0:1], s[4:5]
	s_cbranch_execz .LBB7_20
; %bb.18:
	v_lshlrev_b64 v[3:4], 1, v[4:5]
	v_mov_b32_e32 v5, s15
	v_add_co_u32_e32 v3, vcc, s14, v3
	v_addc_co_u32_e32 v4, vcc, v5, v4, vcc
	global_load_ushort v3, v[3:4], off
	v_lshl_add_u32 v0, v0, 2, s17
	ds_read_b32 v0, v0
	s_mov_b64 s[0:1], 0
	v_mov_b32_e32 v5, s13
	v_mov_b32_e32 v6, s9
	s_waitcnt vmcnt(0)
	v_cvt_f32_f16_e32 v4, v3
.LBB7_19:                               ; =>This Inner Loop Header: Depth=1
	v_ashrrev_i32_e32 v3, 31, v2
	v_lshlrev_b64 v[7:8], 1, v[2:3]
	v_add_u32_e32 v1, s16, v1
	v_add_co_u32_e32 v9, vcc, s12, v7
	v_addc_co_u32_e32 v10, vcc, v5, v8, vcc
	global_load_ushort v3, v[9:10], off
	v_cmp_le_i32_e32 vcc, s3, v1
	s_or_b64 s[0:1], vcc, s[0:1]
	v_add_co_u32_e32 v7, vcc, s8, v7
	v_addc_co_u32_e32 v8, vcc, v6, v8, vcc
	v_add_u32_e32 v2, s2, v2
	s_waitcnt vmcnt(0)
	v_cvt_f32_f16_e32 v3, v3
	v_mul_f32_e32 v3, v4, v3
	s_waitcnt lgkmcnt(0)
	v_fma_mixlo_f16 v3, v0, v3, 0
	global_store_short v[7:8], v3, off
	s_andn2_b64 exec, exec, s[0:1]
	s_cbranch_execnz .LBB7_19
.LBB7_20:
	s_endpgm
.LBB7_21:                               ;   in Loop: Header=BB7_22 Depth=1
	s_or_b64 exec, exec, s[0:1]
	s_lshr_b32 s0, s19, 1
	s_cmpk_lt_u32 s19, 0x80
	s_mov_b32 s19, s0
	s_waitcnt lgkmcnt(0)
	s_barrier
	s_cbranch_scc1 .LBB7_7
.LBB7_22:                               ; =>This Inner Loop Header: Depth=1
	v_cmp_gt_i32_e32 vcc, s19, v6
	s_and_saveexec_b64 s[0:1], vcc
	s_cbranch_execz .LBB7_21
; %bb.23:                               ;   in Loop: Header=BB7_22 Depth=1
	v_lshl_add_u32 v7, s19, 2, v5
	ds_read_b32 v8, v5
	ds_read_b32 v7, v7
	s_waitcnt lgkmcnt(0)
	v_add_f32_e32 v7, v8, v7
	ds_write_b32 v5, v7
	s_branch .LBB7_21
	.section	.rodata,"a",@progbits
	.p2align	6, 0x0
	.amdhsa_kernel _ZN2at6native12_GLOBAL__N_131weight_norm_fwd_last_dim_kernelIN3c104HalfEfEEvPT_PT0_PKS5_SA_ii
		.amdhsa_group_segment_fixed_size 0
		.amdhsa_private_segment_fixed_size 0
		.amdhsa_kernarg_size 296
		.amdhsa_user_sgpr_count 6
		.amdhsa_user_sgpr_private_segment_buffer 1
		.amdhsa_user_sgpr_dispatch_ptr 0
		.amdhsa_user_sgpr_queue_ptr 0
		.amdhsa_user_sgpr_kernarg_segment_ptr 1
		.amdhsa_user_sgpr_dispatch_id 0
		.amdhsa_user_sgpr_flat_scratch_init 0
		.amdhsa_user_sgpr_private_segment_size 0
		.amdhsa_uses_dynamic_stack 0
		.amdhsa_system_sgpr_private_segment_wavefront_offset 0
		.amdhsa_system_sgpr_workgroup_id_x 1
		.amdhsa_system_sgpr_workgroup_id_y 0
		.amdhsa_system_sgpr_workgroup_id_z 0
		.amdhsa_system_sgpr_workgroup_info 0
		.amdhsa_system_vgpr_workitem_id 1
		.amdhsa_next_free_vgpr 13
		.amdhsa_next_free_sgpr 20
		.amdhsa_reserve_vcc 1
		.amdhsa_reserve_flat_scratch 0
		.amdhsa_float_round_mode_32 0
		.amdhsa_float_round_mode_16_64 0
		.amdhsa_float_denorm_mode_32 3
		.amdhsa_float_denorm_mode_16_64 3
		.amdhsa_dx10_clamp 1
		.amdhsa_ieee_mode 1
		.amdhsa_fp16_overflow 0
		.amdhsa_exception_fp_ieee_invalid_op 0
		.amdhsa_exception_fp_denorm_src 0
		.amdhsa_exception_fp_ieee_div_zero 0
		.amdhsa_exception_fp_ieee_overflow 0
		.amdhsa_exception_fp_ieee_underflow 0
		.amdhsa_exception_fp_ieee_inexact 0
		.amdhsa_exception_int_div_zero 0
	.end_amdhsa_kernel
	.section	.text._ZN2at6native12_GLOBAL__N_131weight_norm_fwd_last_dim_kernelIN3c104HalfEfEEvPT_PT0_PKS5_SA_ii,"axG",@progbits,_ZN2at6native12_GLOBAL__N_131weight_norm_fwd_last_dim_kernelIN3c104HalfEfEEvPT_PT0_PKS5_SA_ii,comdat
.Lfunc_end7:
	.size	_ZN2at6native12_GLOBAL__N_131weight_norm_fwd_last_dim_kernelIN3c104HalfEfEEvPT_PT0_PKS5_SA_ii, .Lfunc_end7-_ZN2at6native12_GLOBAL__N_131weight_norm_fwd_last_dim_kernelIN3c104HalfEfEEvPT_PT0_PKS5_SA_ii
                                        ; -- End function
	.set _ZN2at6native12_GLOBAL__N_131weight_norm_fwd_last_dim_kernelIN3c104HalfEfEEvPT_PT0_PKS5_SA_ii.num_vgpr, 13
	.set _ZN2at6native12_GLOBAL__N_131weight_norm_fwd_last_dim_kernelIN3c104HalfEfEEvPT_PT0_PKS5_SA_ii.num_agpr, 0
	.set _ZN2at6native12_GLOBAL__N_131weight_norm_fwd_last_dim_kernelIN3c104HalfEfEEvPT_PT0_PKS5_SA_ii.numbered_sgpr, 20
	.set _ZN2at6native12_GLOBAL__N_131weight_norm_fwd_last_dim_kernelIN3c104HalfEfEEvPT_PT0_PKS5_SA_ii.num_named_barrier, 0
	.set _ZN2at6native12_GLOBAL__N_131weight_norm_fwd_last_dim_kernelIN3c104HalfEfEEvPT_PT0_PKS5_SA_ii.private_seg_size, 0
	.set _ZN2at6native12_GLOBAL__N_131weight_norm_fwd_last_dim_kernelIN3c104HalfEfEEvPT_PT0_PKS5_SA_ii.uses_vcc, 1
	.set _ZN2at6native12_GLOBAL__N_131weight_norm_fwd_last_dim_kernelIN3c104HalfEfEEvPT_PT0_PKS5_SA_ii.uses_flat_scratch, 0
	.set _ZN2at6native12_GLOBAL__N_131weight_norm_fwd_last_dim_kernelIN3c104HalfEfEEvPT_PT0_PKS5_SA_ii.has_dyn_sized_stack, 0
	.set _ZN2at6native12_GLOBAL__N_131weight_norm_fwd_last_dim_kernelIN3c104HalfEfEEvPT_PT0_PKS5_SA_ii.has_recursion, 0
	.set _ZN2at6native12_GLOBAL__N_131weight_norm_fwd_last_dim_kernelIN3c104HalfEfEEvPT_PT0_PKS5_SA_ii.has_indirect_call, 0
	.section	.AMDGPU.csdata,"",@progbits
; Kernel info:
; codeLenInByte = 936
; TotalNumSgprs: 24
; NumVgprs: 13
; ScratchSize: 0
; MemoryBound: 0
; FloatMode: 240
; IeeeMode: 1
; LDSByteSize: 0 bytes/workgroup (compile time only)
; SGPRBlocks: 2
; VGPRBlocks: 3
; NumSGPRsForWavesPerEU: 24
; NumVGPRsForWavesPerEU: 13
; Occupancy: 10
; WaveLimiterHint : 0
; COMPUTE_PGM_RSRC2:SCRATCH_EN: 0
; COMPUTE_PGM_RSRC2:USER_SGPR: 6
; COMPUTE_PGM_RSRC2:TRAP_HANDLER: 0
; COMPUTE_PGM_RSRC2:TGID_X_EN: 1
; COMPUTE_PGM_RSRC2:TGID_Y_EN: 0
; COMPUTE_PGM_RSRC2:TGID_Z_EN: 0
; COMPUTE_PGM_RSRC2:TIDIG_COMP_CNT: 1
	.section	.text._ZN2at6native12_GLOBAL__N_132weight_norm_bwd_first_dim_kernelIddEEvPT_S4_PKS3_S6_S6_PKT0_i,"axG",@progbits,_ZN2at6native12_GLOBAL__N_132weight_norm_bwd_first_dim_kernelIddEEvPT_S4_PKS3_S6_S6_PKT0_i,comdat
	.globl	_ZN2at6native12_GLOBAL__N_132weight_norm_bwd_first_dim_kernelIddEEvPT_S4_PKS3_S6_S6_PKT0_i ; -- Begin function _ZN2at6native12_GLOBAL__N_132weight_norm_bwd_first_dim_kernelIddEEvPT_S4_PKS3_S6_S6_PKT0_i
	.p2align	8
	.type	_ZN2at6native12_GLOBAL__N_132weight_norm_bwd_first_dim_kernelIddEEvPT_S4_PKS3_S6_S6_PKT0_i,@function
_ZN2at6native12_GLOBAL__N_132weight_norm_bwd_first_dim_kernelIddEEvPT_S4_PKS3_S6_S6_PKT0_i: ; @_ZN2at6native12_GLOBAL__N_132weight_norm_bwd_first_dim_kernelIddEEvPT_S4_PKS3_S6_S6_PKT0_i
; %bb.0:
	s_load_dwordx4 s[16:19], s[4:5], 0x20
	s_load_dword s0, s[4:5], 0x44
	s_load_dword s24, s[4:5], 0x30
	s_load_dwordx8 s[8:15], s[4:5], 0x0
	s_add_u32 s4, s4, 56
	v_mov_b32_e32 v4, 0
	s_addc_u32 s5, s5, 0
	s_waitcnt lgkmcnt(0)
	s_mul_i32 s2, s24, s6
	v_add_u32_e32 v2, s2, v0
	s_and_b32 s25, s0, 0xffff
	v_cmp_gt_i32_e64 s[0:1], s24, v0
	v_mov_b32_e32 v5, 0
	v_ashrrev_i32_e32 v3, 31, v2
	s_and_saveexec_b64 s[20:21], s[0:1]
	s_cbranch_execz .LBB8_4
; %bb.1:
	v_lshlrev_b64 v[6:7], 3, v[2:3]
	v_mov_b32_e32 v4, 0
	s_lshl_b32 s7, s25, 3
	v_mov_b32_e32 v5, 0
	s_mov_b64 s[22:23], 0
	v_mov_b32_e32 v8, s13
	v_mov_b32_e32 v9, s15
	;; [unrolled: 1-line block ×3, first 2 shown]
.LBB8_2:                                ; =>This Inner Loop Header: Depth=1
	v_add_co_u32_e32 v11, vcc, s12, v6
	v_addc_co_u32_e32 v12, vcc, v8, v7, vcc
	v_add_co_u32_e32 v13, vcc, s14, v6
	v_addc_co_u32_e32 v14, vcc, v9, v7, vcc
	global_load_dwordx2 v[15:16], v[11:12], off
	global_load_dwordx2 v[17:18], v[13:14], off
	v_add_u32_e32 v10, s25, v10
	v_add_co_u32_e32 v6, vcc, s7, v6
	v_cmp_le_i32_e64 s[2:3], s24, v10
	s_or_b64 s[22:23], s[2:3], s[22:23]
	v_addc_co_u32_e32 v7, vcc, 0, v7, vcc
	s_waitcnt vmcnt(0)
	v_fma_f64 v[4:5], v[15:16], v[17:18], v[4:5]
	s_andn2_b64 exec, exec, s[22:23]
	s_cbranch_execnz .LBB8_2
; %bb.3:
	s_or_b64 exec, exec, s[22:23]
.LBB8_4:
	s_or_b64 exec, exec, s[20:21]
	s_load_dword s2, s[4:5], 0xc
	v_mad_u32_u24 v1, v1, s25, v0
	s_waitcnt lgkmcnt(0)
	s_lshr_b32 s2, s2, 16
	s_mul_i32 s2, s2, s25
	s_cmp_gt_i32 s2, 63
	s_cselect_b64 s[4:5], -1, 0
	s_cmp_lt_i32 s2, 64
	s_cbranch_scc1 .LBB8_6
; %bb.5:
	v_lshl_add_u32 v6, v1, 3, 0
	ds_write_b64 v6, v[4:5]
	s_waitcnt lgkmcnt(0)
	s_barrier
.LBB8_6:
	s_ashr_i32 s7, s2, 1
	s_cmp_lt_i32 s7, 64
	s_cbranch_scc1 .LBB8_11
; %bb.7:
	v_lshl_add_u32 v6, v1, 3, 0
	s_branch .LBB8_9
.LBB8_8:                                ;   in Loop: Header=BB8_9 Depth=1
	s_or_b64 exec, exec, s[2:3]
	s_lshr_b32 s2, s7, 1
	s_cmpk_lt_u32 s7, 0x80
	s_mov_b32 s7, s2
	s_waitcnt lgkmcnt(0)
	s_barrier
	s_cbranch_scc1 .LBB8_11
.LBB8_9:                                ; =>This Inner Loop Header: Depth=1
	v_cmp_gt_i32_e32 vcc, s7, v1
	s_and_saveexec_b64 s[2:3], vcc
	s_cbranch_execz .LBB8_8
; %bb.10:                               ;   in Loop: Header=BB8_9 Depth=1
	v_lshl_add_u32 v9, s7, 3, v6
	ds_read_b64 v[7:8], v6
	ds_read_b64 v[9:10], v9
	s_waitcnt lgkmcnt(0)
	v_add_f64 v[7:8], v[7:8], v[9:10]
	ds_write_b64 v6, v[7:8]
	s_branch .LBB8_8
.LBB8_11:
	v_cmp_gt_u32_e32 vcc, 32, v1
	s_and_saveexec_b64 s[2:3], vcc
	s_cbranch_execz .LBB8_16
; %bb.12:
	s_andn2_b64 vcc, exec, s[4:5]
	s_cbranch_vccnz .LBB8_14
; %bb.13:
	v_lshl_add_u32 v4, v1, 3, 0
	ds_read2_b64 v[4:7], v4 offset1:32
	s_waitcnt lgkmcnt(0)
	v_add_f64 v[4:5], v[4:5], v[6:7]
.LBB8_14:
	v_mbcnt_lo_u32_b32 v6, -1, 0
	v_mbcnt_hi_u32_b32 v8, -1, v6
	v_and_b32_e32 v9, 63, v8
	v_cmp_gt_u32_e32 vcc, 48, v9
	v_cndmask_b32_e64 v6, 0, 16, vcc
	v_add_lshl_u32 v7, v6, v8, 2
	ds_bpermute_b32 v6, v7, v4
	ds_bpermute_b32 v7, v7, v5
	v_cmp_gt_u32_e32 vcc, 56, v9
	s_waitcnt lgkmcnt(0)
	v_add_f64 v[4:5], v[4:5], v[6:7]
	v_cndmask_b32_e64 v6, 0, 8, vcc
	v_add_lshl_u32 v7, v6, v8, 2
	v_cmp_gt_u32_e32 vcc, 60, v9
	ds_bpermute_b32 v6, v7, v4
	ds_bpermute_b32 v7, v7, v5
	s_waitcnt lgkmcnt(0)
	v_add_f64 v[4:5], v[4:5], v[6:7]
	v_cndmask_b32_e64 v6, 0, 4, vcc
	v_add_lshl_u32 v7, v6, v8, 2
	v_cmp_gt_u32_e32 vcc, 62, v9
	ds_bpermute_b32 v6, v7, v4
	ds_bpermute_b32 v7, v7, v5
	s_waitcnt lgkmcnt(0)
	v_add_f64 v[4:5], v[4:5], v[6:7]
	v_cndmask_b32_e64 v6, 0, 2, vcc
	v_add_lshl_u32 v7, v6, v8, 2
	v_cmp_ne_u32_e32 vcc, 63, v9
	ds_bpermute_b32 v6, v7, v4
	ds_bpermute_b32 v7, v7, v5
	s_waitcnt lgkmcnt(0)
	v_add_f64 v[4:5], v[4:5], v[6:7]
	v_addc_co_u32_e32 v6, vcc, 0, v8, vcc
	v_lshlrev_b32_e32 v7, 2, v6
	v_cmp_eq_u32_e32 vcc, 0, v1
	ds_bpermute_b32 v6, v7, v4
	ds_bpermute_b32 v7, v7, v5
	s_and_b64 exec, exec, vcc
	s_cbranch_execz .LBB8_16
; %bb.15:
	s_waitcnt lgkmcnt(0)
	v_add_f64 v[4:5], v[4:5], v[6:7]
	v_mov_b32_e32 v1, 0
	ds_write_b64 v1, v[4:5]
.LBB8_16:
	s_or_b64 exec, exec, s[2:3]
	s_ashr_i32 s7, s6, 31
	s_lshl_b64 s[2:3], s[6:7], 3
	s_add_u32 s4, s18, s2
	s_addc_u32 s5, s19, s3
	s_waitcnt lgkmcnt(0)
	s_barrier
	s_load_dwordx2 s[4:5], s[4:5], 0x0
	v_mov_b32_e32 v1, 0
	s_waitcnt lgkmcnt(0)
	v_div_scale_f64 v[4:5], s[6:7], s[4:5], s[4:5], 1.0
	v_div_scale_f64 v[10:11], vcc, 1.0, s[4:5], 1.0
	v_rcp_f64_e32 v[6:7], v[4:5]
	v_fma_f64 v[8:9], -v[4:5], v[6:7], 1.0
	v_fma_f64 v[6:7], v[6:7], v[8:9], v[6:7]
	v_fma_f64 v[8:9], -v[4:5], v[6:7], 1.0
	v_fma_f64 v[6:7], v[6:7], v[8:9], v[6:7]
	v_mul_f64 v[8:9], v[10:11], v[6:7]
	v_fma_f64 v[4:5], -v[4:5], v[8:9], v[10:11]
	v_div_fmas_f64 v[4:5], v[4:5], v[6:7], v[8:9]
	ds_read_b64 v[6:7], v1
	v_cmp_eq_u32_e32 vcc, 0, v0
	v_div_fixup_f64 v[4:5], v[4:5], s[4:5], 1.0
	s_and_saveexec_b64 s[4:5], vcc
	s_cbranch_execz .LBB8_18
; %bb.17:
	s_waitcnt lgkmcnt(0)
	v_mul_f64 v[8:9], v[6:7], v[4:5]
	s_add_u32 s6, s10, s2
	s_addc_u32 s7, s11, s3
	global_store_dwordx2 v1, v[8:9], s[6:7]
.LBB8_18:
	s_or_b64 exec, exec, s[4:5]
	s_and_saveexec_b64 s[4:5], s[0:1]
	s_cbranch_execz .LBB8_21
; %bb.19:
	v_mul_f64 v[8:9], v[4:5], v[4:5]
	s_add_u32 s0, s16, s2
	s_addc_u32 s1, s17, s3
	s_load_dwordx2 s[0:1], s[0:1], 0x0
	v_lshlrev_b64 v[1:2], 3, v[2:3]
	s_lshl_b32 s4, s25, 3
	s_mov_b64 s[2:3], 0
	v_mov_b32_e32 v3, s13
	v_mul_f64 v[8:9], v[4:5], v[8:9]
	v_mov_b32_e32 v10, s15
	v_mov_b32_e32 v11, s9
.LBB8_20:                               ; =>This Inner Loop Header: Depth=1
	v_add_co_u32_e32 v12, vcc, s14, v1
	v_addc_co_u32_e32 v13, vcc, v10, v2, vcc
	global_load_dwordx2 v[12:13], v[12:13], off
	v_add_co_u32_e32 v14, vcc, s12, v1
	v_addc_co_u32_e32 v15, vcc, v3, v2, vcc
	global_load_dwordx2 v[14:15], v[14:15], off
	v_add_u32_e32 v0, s25, v0
	s_waitcnt vmcnt(1)
	v_mul_f64 v[12:13], v[8:9], v[12:13]
	s_waitcnt lgkmcnt(0)
	v_mul_f64 v[12:13], v[6:7], v[12:13]
	s_waitcnt vmcnt(0)
	v_fma_f64 v[12:13], v[4:5], v[14:15], -v[12:13]
	v_add_co_u32_e32 v14, vcc, s8, v1
	v_addc_co_u32_e32 v15, vcc, v11, v2, vcc
	v_add_co_u32_e32 v1, vcc, s4, v1
	v_addc_co_u32_e32 v2, vcc, 0, v2, vcc
	v_mul_f64 v[12:13], s[0:1], v[12:13]
	v_cmp_le_i32_e32 vcc, s24, v0
	s_or_b64 s[2:3], vcc, s[2:3]
	global_store_dwordx2 v[14:15], v[12:13], off
	s_andn2_b64 exec, exec, s[2:3]
	s_cbranch_execnz .LBB8_20
.LBB8_21:
	s_endpgm
	.section	.rodata,"a",@progbits
	.p2align	6, 0x0
	.amdhsa_kernel _ZN2at6native12_GLOBAL__N_132weight_norm_bwd_first_dim_kernelIddEEvPT_S4_PKS3_S6_S6_PKT0_i
		.amdhsa_group_segment_fixed_size 0
		.amdhsa_private_segment_fixed_size 0
		.amdhsa_kernarg_size 312
		.amdhsa_user_sgpr_count 6
		.amdhsa_user_sgpr_private_segment_buffer 1
		.amdhsa_user_sgpr_dispatch_ptr 0
		.amdhsa_user_sgpr_queue_ptr 0
		.amdhsa_user_sgpr_kernarg_segment_ptr 1
		.amdhsa_user_sgpr_dispatch_id 0
		.amdhsa_user_sgpr_flat_scratch_init 0
		.amdhsa_user_sgpr_private_segment_size 0
		.amdhsa_uses_dynamic_stack 0
		.amdhsa_system_sgpr_private_segment_wavefront_offset 0
		.amdhsa_system_sgpr_workgroup_id_x 1
		.amdhsa_system_sgpr_workgroup_id_y 0
		.amdhsa_system_sgpr_workgroup_id_z 0
		.amdhsa_system_sgpr_workgroup_info 0
		.amdhsa_system_vgpr_workitem_id 1
		.amdhsa_next_free_vgpr 19
		.amdhsa_next_free_sgpr 26
		.amdhsa_reserve_vcc 1
		.amdhsa_reserve_flat_scratch 0
		.amdhsa_float_round_mode_32 0
		.amdhsa_float_round_mode_16_64 0
		.amdhsa_float_denorm_mode_32 3
		.amdhsa_float_denorm_mode_16_64 3
		.amdhsa_dx10_clamp 1
		.amdhsa_ieee_mode 1
		.amdhsa_fp16_overflow 0
		.amdhsa_exception_fp_ieee_invalid_op 0
		.amdhsa_exception_fp_denorm_src 0
		.amdhsa_exception_fp_ieee_div_zero 0
		.amdhsa_exception_fp_ieee_overflow 0
		.amdhsa_exception_fp_ieee_underflow 0
		.amdhsa_exception_fp_ieee_inexact 0
		.amdhsa_exception_int_div_zero 0
	.end_amdhsa_kernel
	.section	.text._ZN2at6native12_GLOBAL__N_132weight_norm_bwd_first_dim_kernelIddEEvPT_S4_PKS3_S6_S6_PKT0_i,"axG",@progbits,_ZN2at6native12_GLOBAL__N_132weight_norm_bwd_first_dim_kernelIddEEvPT_S4_PKS3_S6_S6_PKT0_i,comdat
.Lfunc_end8:
	.size	_ZN2at6native12_GLOBAL__N_132weight_norm_bwd_first_dim_kernelIddEEvPT_S4_PKS3_S6_S6_PKT0_i, .Lfunc_end8-_ZN2at6native12_GLOBAL__N_132weight_norm_bwd_first_dim_kernelIddEEvPT_S4_PKS3_S6_S6_PKT0_i
                                        ; -- End function
	.set _ZN2at6native12_GLOBAL__N_132weight_norm_bwd_first_dim_kernelIddEEvPT_S4_PKS3_S6_S6_PKT0_i.num_vgpr, 19
	.set _ZN2at6native12_GLOBAL__N_132weight_norm_bwd_first_dim_kernelIddEEvPT_S4_PKS3_S6_S6_PKT0_i.num_agpr, 0
	.set _ZN2at6native12_GLOBAL__N_132weight_norm_bwd_first_dim_kernelIddEEvPT_S4_PKS3_S6_S6_PKT0_i.numbered_sgpr, 26
	.set _ZN2at6native12_GLOBAL__N_132weight_norm_bwd_first_dim_kernelIddEEvPT_S4_PKS3_S6_S6_PKT0_i.num_named_barrier, 0
	.set _ZN2at6native12_GLOBAL__N_132weight_norm_bwd_first_dim_kernelIddEEvPT_S4_PKS3_S6_S6_PKT0_i.private_seg_size, 0
	.set _ZN2at6native12_GLOBAL__N_132weight_norm_bwd_first_dim_kernelIddEEvPT_S4_PKS3_S6_S6_PKT0_i.uses_vcc, 1
	.set _ZN2at6native12_GLOBAL__N_132weight_norm_bwd_first_dim_kernelIddEEvPT_S4_PKS3_S6_S6_PKT0_i.uses_flat_scratch, 0
	.set _ZN2at6native12_GLOBAL__N_132weight_norm_bwd_first_dim_kernelIddEEvPT_S4_PKS3_S6_S6_PKT0_i.has_dyn_sized_stack, 0
	.set _ZN2at6native12_GLOBAL__N_132weight_norm_bwd_first_dim_kernelIddEEvPT_S4_PKS3_S6_S6_PKT0_i.has_recursion, 0
	.set _ZN2at6native12_GLOBAL__N_132weight_norm_bwd_first_dim_kernelIddEEvPT_S4_PKS3_S6_S6_PKT0_i.has_indirect_call, 0
	.section	.AMDGPU.csdata,"",@progbits
; Kernel info:
; codeLenInByte = 1084
; TotalNumSgprs: 30
; NumVgprs: 19
; ScratchSize: 0
; MemoryBound: 0
; FloatMode: 240
; IeeeMode: 1
; LDSByteSize: 0 bytes/workgroup (compile time only)
; SGPRBlocks: 3
; VGPRBlocks: 4
; NumSGPRsForWavesPerEU: 30
; NumVGPRsForWavesPerEU: 19
; Occupancy: 10
; WaveLimiterHint : 0
; COMPUTE_PGM_RSRC2:SCRATCH_EN: 0
; COMPUTE_PGM_RSRC2:USER_SGPR: 6
; COMPUTE_PGM_RSRC2:TRAP_HANDLER: 0
; COMPUTE_PGM_RSRC2:TGID_X_EN: 1
; COMPUTE_PGM_RSRC2:TGID_Y_EN: 0
; COMPUTE_PGM_RSRC2:TGID_Z_EN: 0
; COMPUTE_PGM_RSRC2:TIDIG_COMP_CNT: 1
	.section	.text._ZN2at6native12_GLOBAL__N_132weight_norm_bwd_first_dim_kernelIffEEvPT_S4_PKS3_S6_S6_PKT0_i,"axG",@progbits,_ZN2at6native12_GLOBAL__N_132weight_norm_bwd_first_dim_kernelIffEEvPT_S4_PKS3_S6_S6_PKT0_i,comdat
	.globl	_ZN2at6native12_GLOBAL__N_132weight_norm_bwd_first_dim_kernelIffEEvPT_S4_PKS3_S6_S6_PKT0_i ; -- Begin function _ZN2at6native12_GLOBAL__N_132weight_norm_bwd_first_dim_kernelIffEEvPT_S4_PKS3_S6_S6_PKT0_i
	.p2align	8
	.type	_ZN2at6native12_GLOBAL__N_132weight_norm_bwd_first_dim_kernelIffEEvPT_S4_PKS3_S6_S6_PKT0_i,@function
_ZN2at6native12_GLOBAL__N_132weight_norm_bwd_first_dim_kernelIffEEvPT_S4_PKS3_S6_S6_PKT0_i: ; @_ZN2at6native12_GLOBAL__N_132weight_norm_bwd_first_dim_kernelIffEEvPT_S4_PKS3_S6_S6_PKT0_i
; %bb.0:
	s_load_dwordx4 s[16:19], s[4:5], 0x20
	s_load_dword s0, s[4:5], 0x44
	s_load_dword s22, s[4:5], 0x30
	s_load_dwordx8 s[8:15], s[4:5], 0x0
	s_add_u32 s2, s4, 56
	s_addc_u32 s3, s5, 0
	s_waitcnt lgkmcnt(0)
	s_and_b32 s23, s0, 0xffff
	s_mul_i32 s4, s22, s6
	v_add_u32_e32 v2, s4, v0
	v_cmp_gt_i32_e64 s[0:1], s22, v0
	v_mov_b32_e32 v6, 0
	v_ashrrev_i32_e32 v3, 31, v2
	s_and_saveexec_b64 s[4:5], s[0:1]
	s_cbranch_execz .LBB9_4
; %bb.1:
	v_lshlrev_b64 v[4:5], 2, v[2:3]
	s_lshl_b32 s7, s23, 2
	v_mov_b32_e32 v6, 0
	s_mov_b64 s[20:21], 0
	v_mov_b32_e32 v7, s13
	v_mov_b32_e32 v8, s15
	;; [unrolled: 1-line block ×3, first 2 shown]
.LBB9_2:                                ; =>This Inner Loop Header: Depth=1
	v_add_co_u32_e32 v10, vcc, s12, v4
	v_addc_co_u32_e32 v11, vcc, v7, v5, vcc
	v_add_co_u32_e32 v12, vcc, s14, v4
	v_addc_co_u32_e32 v13, vcc, v8, v5, vcc
	global_load_dword v14, v[10:11], off
	global_load_dword v15, v[12:13], off
	v_add_co_u32_e32 v4, vcc, s7, v4
	v_add_u32_e32 v9, s23, v9
	v_addc_co_u32_e32 v5, vcc, 0, v5, vcc
	v_cmp_le_i32_e32 vcc, s22, v9
	s_or_b64 s[20:21], vcc, s[20:21]
	s_waitcnt vmcnt(0)
	v_fmac_f32_e32 v6, v14, v15
	s_andn2_b64 exec, exec, s[20:21]
	s_cbranch_execnz .LBB9_2
; %bb.3:
	s_or_b64 exec, exec, s[20:21]
.LBB9_4:
	s_or_b64 exec, exec, s[4:5]
	s_load_dword s2, s[2:3], 0xc
	v_mad_u32_u24 v1, v1, s23, v0
	s_waitcnt lgkmcnt(0)
	s_lshr_b32 s2, s2, 16
	s_mul_i32 s2, s2, s23
	s_cmp_gt_i32 s2, 63
	s_cselect_b64 s[4:5], -1, 0
	s_cmp_lt_i32 s2, 64
	s_cbranch_scc1 .LBB9_6
; %bb.5:
	v_lshl_add_u32 v4, v1, 2, 0
	ds_write_b32 v4, v6
	s_waitcnt lgkmcnt(0)
	s_barrier
.LBB9_6:
	s_ashr_i32 s7, s2, 1
	s_cmp_lt_i32 s7, 64
	s_cbranch_scc1 .LBB9_11
; %bb.7:
	v_lshl_add_u32 v4, v1, 2, 0
	s_branch .LBB9_9
.LBB9_8:                                ;   in Loop: Header=BB9_9 Depth=1
	s_or_b64 exec, exec, s[2:3]
	s_lshr_b32 s2, s7, 1
	s_cmpk_lt_u32 s7, 0x80
	s_mov_b32 s7, s2
	s_waitcnt lgkmcnt(0)
	s_barrier
	s_cbranch_scc1 .LBB9_11
.LBB9_9:                                ; =>This Inner Loop Header: Depth=1
	v_cmp_gt_i32_e32 vcc, s7, v1
	s_and_saveexec_b64 s[2:3], vcc
	s_cbranch_execz .LBB9_8
; %bb.10:                               ;   in Loop: Header=BB9_9 Depth=1
	v_lshl_add_u32 v5, s7, 2, v4
	ds_read_b32 v7, v4
	ds_read_b32 v5, v5
	s_waitcnt lgkmcnt(0)
	v_add_f32_e32 v5, v7, v5
	ds_write_b32 v4, v5
	s_branch .LBB9_8
.LBB9_11:
	v_cmp_gt_u32_e32 vcc, 32, v1
	s_and_saveexec_b64 s[2:3], vcc
	s_cbranch_execz .LBB9_16
; %bb.12:
	s_andn2_b64 vcc, exec, s[4:5]
	s_cbranch_vccnz .LBB9_14
; %bb.13:
	v_lshl_add_u32 v4, v1, 2, 0
	ds_read2_b32 v[4:5], v4 offset1:32
	s_waitcnt lgkmcnt(0)
	v_add_f32_e32 v6, v4, v5
.LBB9_14:
	v_mbcnt_lo_u32_b32 v4, -1, 0
	v_mbcnt_hi_u32_b32 v4, -1, v4
	v_and_b32_e32 v5, 63, v4
	v_cmp_gt_u32_e32 vcc, 48, v5
	v_cndmask_b32_e64 v7, 0, 16, vcc
	v_add_lshl_u32 v7, v7, v4, 2
	ds_bpermute_b32 v7, v7, v6
	v_cmp_gt_u32_e32 vcc, 56, v5
	v_cndmask_b32_e64 v8, 0, 8, vcc
	v_add_lshl_u32 v8, v8, v4, 2
	v_cmp_gt_u32_e32 vcc, 60, v5
	s_waitcnt lgkmcnt(0)
	v_add_f32_e32 v6, v6, v7
	ds_bpermute_b32 v7, v8, v6
	v_cndmask_b32_e64 v8, 0, 4, vcc
	v_add_lshl_u32 v8, v8, v4, 2
	v_cmp_gt_u32_e32 vcc, 62, v5
	s_waitcnt lgkmcnt(0)
	v_add_f32_e32 v6, v6, v7
	ds_bpermute_b32 v7, v8, v6
	v_cndmask_b32_e64 v8, 0, 2, vcc
	v_add_lshl_u32 v8, v8, v4, 2
	v_cmp_ne_u32_e32 vcc, 63, v5
	v_addc_co_u32_e32 v5, vcc, 0, v4, vcc
	s_waitcnt lgkmcnt(0)
	v_add_f32_e32 v6, v6, v7
	ds_bpermute_b32 v7, v8, v6
	v_lshlrev_b32_e32 v5, 2, v5
	v_cmp_eq_u32_e32 vcc, 0, v1
	s_waitcnt lgkmcnt(0)
	v_add_f32_e32 v4, v6, v7
	ds_bpermute_b32 v5, v5, v4
	s_and_b64 exec, exec, vcc
	s_cbranch_execz .LBB9_16
; %bb.15:
	s_waitcnt lgkmcnt(0)
	v_add_f32_e32 v1, v4, v5
	v_mov_b32_e32 v4, 0
	ds_write_b32 v4, v1
.LBB9_16:
	s_or_b64 exec, exec, s[2:3]
	s_ashr_i32 s7, s6, 31
	s_lshl_b64 s[2:3], s[6:7], 2
	s_add_u32 s4, s18, s2
	s_addc_u32 s5, s19, s3
	s_waitcnt lgkmcnt(0)
	s_barrier
	s_load_dword s6, s[4:5], 0x0
	s_waitcnt lgkmcnt(0)
	v_div_scale_f32 v1, s[4:5], s6, s6, 1.0
	v_div_scale_f32 v4, vcc, 1.0, s6, 1.0
	v_rcp_f32_e32 v5, v1
	v_fma_f32 v6, -v1, v5, 1.0
	v_fmac_f32_e32 v5, v6, v5
	v_mul_f32_e32 v6, v4, v5
	v_fma_f32 v7, -v1, v6, v4
	v_fmac_f32_e32 v6, v7, v5
	v_fma_f32 v1, -v1, v6, v4
	v_div_fmas_f32 v5, v1, v5, v6
	v_mov_b32_e32 v1, 0
	ds_read_b32 v4, v1
	v_cmp_eq_u32_e32 vcc, 0, v0
	v_div_fixup_f32 v5, v5, s6, 1.0
	s_and_saveexec_b64 s[4:5], vcc
	s_cbranch_execz .LBB9_18
; %bb.17:
	s_add_u32 s6, s10, s2
	s_addc_u32 s7, s11, s3
	s_waitcnt lgkmcnt(0)
	v_mul_f32_e32 v6, v4, v5
	global_store_dword v1, v6, s[6:7]
.LBB9_18:
	s_or_b64 exec, exec, s[4:5]
	s_and_saveexec_b64 s[4:5], s[0:1]
	s_cbranch_execz .LBB9_21
; %bb.19:
	s_add_u32 s0, s16, s2
	s_addc_u32 s1, s17, s3
	s_load_dword s4, s[0:1], 0x0
	v_mul_f32_e32 v1, v5, v5
	v_mul_f32_e32 v6, v5, v1
	v_lshlrev_b64 v[1:2], 2, v[2:3]
	s_lshl_b32 s5, s23, 2
	s_mov_b64 s[2:3], 0
	v_mov_b32_e32 v3, s13
	v_mov_b32_e32 v7, s15
	v_mov_b32_e32 v8, s9
.LBB9_20:                               ; =>This Inner Loop Header: Depth=1
	v_add_co_u32_e64 v10, s[0:1], s14, v1
	v_addc_co_u32_e64 v11, s[0:1], v7, v2, s[0:1]
	v_add_co_u32_e32 v9, vcc, s12, v1
	global_load_dword v11, v[10:11], off
	v_addc_co_u32_e32 v10, vcc, v3, v2, vcc
	global_load_dword v12, v[9:10], off
	v_add_co_u32_e32 v9, vcc, s8, v1
	v_addc_co_u32_e32 v10, vcc, v8, v2, vcc
	v_add_co_u32_e32 v1, vcc, s5, v1
	v_add_u32_e32 v0, s23, v0
	v_addc_co_u32_e32 v2, vcc, 0, v2, vcc
	v_cmp_le_i32_e32 vcc, s22, v0
	s_or_b64 s[2:3], vcc, s[2:3]
	s_waitcnt vmcnt(1)
	v_mul_f32_e32 v11, v6, v11
	s_waitcnt lgkmcnt(0)
	v_mul_f32_e32 v11, v4, v11
	s_waitcnt vmcnt(0)
	v_fma_f32 v11, v5, v12, -v11
	v_mul_f32_e32 v11, s4, v11
	global_store_dword v[9:10], v11, off
	s_andn2_b64 exec, exec, s[2:3]
	s_cbranch_execnz .LBB9_20
.LBB9_21:
	s_endpgm
	.section	.rodata,"a",@progbits
	.p2align	6, 0x0
	.amdhsa_kernel _ZN2at6native12_GLOBAL__N_132weight_norm_bwd_first_dim_kernelIffEEvPT_S4_PKS3_S6_S6_PKT0_i
		.amdhsa_group_segment_fixed_size 0
		.amdhsa_private_segment_fixed_size 0
		.amdhsa_kernarg_size 312
		.amdhsa_user_sgpr_count 6
		.amdhsa_user_sgpr_private_segment_buffer 1
		.amdhsa_user_sgpr_dispatch_ptr 0
		.amdhsa_user_sgpr_queue_ptr 0
		.amdhsa_user_sgpr_kernarg_segment_ptr 1
		.amdhsa_user_sgpr_dispatch_id 0
		.amdhsa_user_sgpr_flat_scratch_init 0
		.amdhsa_user_sgpr_private_segment_size 0
		.amdhsa_uses_dynamic_stack 0
		.amdhsa_system_sgpr_private_segment_wavefront_offset 0
		.amdhsa_system_sgpr_workgroup_id_x 1
		.amdhsa_system_sgpr_workgroup_id_y 0
		.amdhsa_system_sgpr_workgroup_id_z 0
		.amdhsa_system_sgpr_workgroup_info 0
		.amdhsa_system_vgpr_workitem_id 1
		.amdhsa_next_free_vgpr 16
		.amdhsa_next_free_sgpr 24
		.amdhsa_reserve_vcc 1
		.amdhsa_reserve_flat_scratch 0
		.amdhsa_float_round_mode_32 0
		.amdhsa_float_round_mode_16_64 0
		.amdhsa_float_denorm_mode_32 3
		.amdhsa_float_denorm_mode_16_64 3
		.amdhsa_dx10_clamp 1
		.amdhsa_ieee_mode 1
		.amdhsa_fp16_overflow 0
		.amdhsa_exception_fp_ieee_invalid_op 0
		.amdhsa_exception_fp_denorm_src 0
		.amdhsa_exception_fp_ieee_div_zero 0
		.amdhsa_exception_fp_ieee_overflow 0
		.amdhsa_exception_fp_ieee_underflow 0
		.amdhsa_exception_fp_ieee_inexact 0
		.amdhsa_exception_int_div_zero 0
	.end_amdhsa_kernel
	.section	.text._ZN2at6native12_GLOBAL__N_132weight_norm_bwd_first_dim_kernelIffEEvPT_S4_PKS3_S6_S6_PKT0_i,"axG",@progbits,_ZN2at6native12_GLOBAL__N_132weight_norm_bwd_first_dim_kernelIffEEvPT_S4_PKS3_S6_S6_PKT0_i,comdat
.Lfunc_end9:
	.size	_ZN2at6native12_GLOBAL__N_132weight_norm_bwd_first_dim_kernelIffEEvPT_S4_PKS3_S6_S6_PKT0_i, .Lfunc_end9-_ZN2at6native12_GLOBAL__N_132weight_norm_bwd_first_dim_kernelIffEEvPT_S4_PKS3_S6_S6_PKT0_i
                                        ; -- End function
	.set _ZN2at6native12_GLOBAL__N_132weight_norm_bwd_first_dim_kernelIffEEvPT_S4_PKS3_S6_S6_PKT0_i.num_vgpr, 16
	.set _ZN2at6native12_GLOBAL__N_132weight_norm_bwd_first_dim_kernelIffEEvPT_S4_PKS3_S6_S6_PKT0_i.num_agpr, 0
	.set _ZN2at6native12_GLOBAL__N_132weight_norm_bwd_first_dim_kernelIffEEvPT_S4_PKS3_S6_S6_PKT0_i.numbered_sgpr, 24
	.set _ZN2at6native12_GLOBAL__N_132weight_norm_bwd_first_dim_kernelIffEEvPT_S4_PKS3_S6_S6_PKT0_i.num_named_barrier, 0
	.set _ZN2at6native12_GLOBAL__N_132weight_norm_bwd_first_dim_kernelIffEEvPT_S4_PKS3_S6_S6_PKT0_i.private_seg_size, 0
	.set _ZN2at6native12_GLOBAL__N_132weight_norm_bwd_first_dim_kernelIffEEvPT_S4_PKS3_S6_S6_PKT0_i.uses_vcc, 1
	.set _ZN2at6native12_GLOBAL__N_132weight_norm_bwd_first_dim_kernelIffEEvPT_S4_PKS3_S6_S6_PKT0_i.uses_flat_scratch, 0
	.set _ZN2at6native12_GLOBAL__N_132weight_norm_bwd_first_dim_kernelIffEEvPT_S4_PKS3_S6_S6_PKT0_i.has_dyn_sized_stack, 0
	.set _ZN2at6native12_GLOBAL__N_132weight_norm_bwd_first_dim_kernelIffEEvPT_S4_PKS3_S6_S6_PKT0_i.has_recursion, 0
	.set _ZN2at6native12_GLOBAL__N_132weight_norm_bwd_first_dim_kernelIffEEvPT_S4_PKS3_S6_S6_PKT0_i.has_indirect_call, 0
	.section	.AMDGPU.csdata,"",@progbits
; Kernel info:
; codeLenInByte = 972
; TotalNumSgprs: 28
; NumVgprs: 16
; ScratchSize: 0
; MemoryBound: 0
; FloatMode: 240
; IeeeMode: 1
; LDSByteSize: 0 bytes/workgroup (compile time only)
; SGPRBlocks: 3
; VGPRBlocks: 3
; NumSGPRsForWavesPerEU: 28
; NumVGPRsForWavesPerEU: 16
; Occupancy: 10
; WaveLimiterHint : 0
; COMPUTE_PGM_RSRC2:SCRATCH_EN: 0
; COMPUTE_PGM_RSRC2:USER_SGPR: 6
; COMPUTE_PGM_RSRC2:TRAP_HANDLER: 0
; COMPUTE_PGM_RSRC2:TGID_X_EN: 1
; COMPUTE_PGM_RSRC2:TGID_Y_EN: 0
; COMPUTE_PGM_RSRC2:TGID_Z_EN: 0
; COMPUTE_PGM_RSRC2:TIDIG_COMP_CNT: 1
	.section	.text._ZN2at6native12_GLOBAL__N_132weight_norm_bwd_first_dim_kernelIN3c108BFloat16EfEEvPT_S6_PKS5_S8_S8_PKT0_i,"axG",@progbits,_ZN2at6native12_GLOBAL__N_132weight_norm_bwd_first_dim_kernelIN3c108BFloat16EfEEvPT_S6_PKS5_S8_S8_PKT0_i,comdat
	.globl	_ZN2at6native12_GLOBAL__N_132weight_norm_bwd_first_dim_kernelIN3c108BFloat16EfEEvPT_S6_PKS5_S8_S8_PKT0_i ; -- Begin function _ZN2at6native12_GLOBAL__N_132weight_norm_bwd_first_dim_kernelIN3c108BFloat16EfEEvPT_S6_PKS5_S8_S8_PKT0_i
	.p2align	8
	.type	_ZN2at6native12_GLOBAL__N_132weight_norm_bwd_first_dim_kernelIN3c108BFloat16EfEEvPT_S6_PKS5_S8_S8_PKT0_i,@function
_ZN2at6native12_GLOBAL__N_132weight_norm_bwd_first_dim_kernelIN3c108BFloat16EfEEvPT_S6_PKS5_S8_S8_PKT0_i: ; @_ZN2at6native12_GLOBAL__N_132weight_norm_bwd_first_dim_kernelIN3c108BFloat16EfEEvPT_S6_PKS5_S8_S8_PKT0_i
; %bb.0:
	s_load_dwordx4 s[16:19], s[4:5], 0x20
	s_load_dword s0, s[4:5], 0x44
	s_load_dword s22, s[4:5], 0x30
	s_load_dwordx8 s[8:15], s[4:5], 0x0
	s_add_u32 s2, s4, 56
	s_addc_u32 s3, s5, 0
	s_waitcnt lgkmcnt(0)
	s_and_b32 s23, s0, 0xffff
	s_mul_i32 s24, s22, s6
	v_cmp_gt_i32_e64 s[0:1], s22, v0
	v_mov_b32_e32 v4, 0
	s_and_saveexec_b64 s[4:5], s[0:1]
	s_cbranch_execz .LBB10_4
; %bb.1:
	v_add_u32_e32 v2, s24, v0
	v_ashrrev_i32_e32 v3, 31, v2
	v_lshlrev_b64 v[2:3], 1, v[2:3]
	s_lshl_b32 s7, s23, 1
	v_mov_b32_e32 v4, 0
	s_mov_b64 s[20:21], 0
	v_mov_b32_e32 v5, s13
	v_mov_b32_e32 v6, s15
	;; [unrolled: 1-line block ×3, first 2 shown]
.LBB10_2:                               ; =>This Inner Loop Header: Depth=1
	v_add_co_u32_e32 v8, vcc, s12, v2
	v_addc_co_u32_e32 v9, vcc, v5, v3, vcc
	v_add_co_u32_e32 v10, vcc, s14, v2
	v_addc_co_u32_e32 v11, vcc, v6, v3, vcc
	global_load_ushort v12, v[10:11], off
	global_load_ushort v13, v[8:9], off
	v_add_co_u32_e32 v2, vcc, s7, v2
	v_add_u32_e32 v7, s23, v7
	v_addc_co_u32_e32 v3, vcc, 0, v3, vcc
	v_cmp_le_i32_e32 vcc, s22, v7
	s_or_b64 s[20:21], vcc, s[20:21]
	s_waitcnt vmcnt(1)
	v_lshlrev_b32_e32 v8, 16, v12
	s_waitcnt vmcnt(0)
	v_lshlrev_b32_e32 v9, 16, v13
	v_fmac_f32_e32 v4, v9, v8
	s_andn2_b64 exec, exec, s[20:21]
	s_cbranch_execnz .LBB10_2
; %bb.3:
	s_or_b64 exec, exec, s[20:21]
.LBB10_4:
	s_or_b64 exec, exec, s[4:5]
	s_load_dword s2, s[2:3], 0xc
	v_mad_u32_u24 v1, v1, s23, v0
	s_waitcnt lgkmcnt(0)
	s_lshr_b32 s2, s2, 16
	s_mul_i32 s2, s2, s23
	s_cmp_gt_i32 s2, 63
	s_cselect_b64 s[4:5], -1, 0
	s_cmp_lt_i32 s2, 64
	s_cbranch_scc1 .LBB10_6
; %bb.5:
	v_lshl_add_u32 v2, v1, 2, 0
	ds_write_b32 v2, v4
	s_waitcnt lgkmcnt(0)
	s_barrier
.LBB10_6:
	s_ashr_i32 s7, s2, 1
	s_cmp_lt_i32 s7, 64
	s_cbranch_scc1 .LBB10_11
; %bb.7:
	v_lshl_add_u32 v2, v1, 2, 0
	s_branch .LBB10_9
.LBB10_8:                               ;   in Loop: Header=BB10_9 Depth=1
	s_or_b64 exec, exec, s[2:3]
	s_lshr_b32 s2, s7, 1
	s_cmpk_lt_u32 s7, 0x80
	s_mov_b32 s7, s2
	s_waitcnt lgkmcnt(0)
	s_barrier
	s_cbranch_scc1 .LBB10_11
.LBB10_9:                               ; =>This Inner Loop Header: Depth=1
	v_cmp_gt_i32_e32 vcc, s7, v1
	s_and_saveexec_b64 s[2:3], vcc
	s_cbranch_execz .LBB10_8
; %bb.10:                               ;   in Loop: Header=BB10_9 Depth=1
	v_lshl_add_u32 v3, s7, 2, v2
	ds_read_b32 v5, v2
	ds_read_b32 v3, v3
	s_waitcnt lgkmcnt(0)
	v_add_f32_e32 v3, v5, v3
	ds_write_b32 v2, v3
	s_branch .LBB10_8
.LBB10_11:
	v_cmp_gt_u32_e32 vcc, 32, v1
	s_and_saveexec_b64 s[2:3], vcc
	s_cbranch_execz .LBB10_16
; %bb.12:
	s_andn2_b64 vcc, exec, s[4:5]
	s_cbranch_vccnz .LBB10_14
; %bb.13:
	v_lshl_add_u32 v2, v1, 2, 0
	ds_read2_b32 v[2:3], v2 offset1:32
	s_waitcnt lgkmcnt(0)
	v_add_f32_e32 v4, v2, v3
.LBB10_14:
	v_mbcnt_lo_u32_b32 v2, -1, 0
	v_mbcnt_hi_u32_b32 v2, -1, v2
	v_and_b32_e32 v3, 63, v2
	v_cmp_gt_u32_e32 vcc, 48, v3
	v_cndmask_b32_e64 v5, 0, 16, vcc
	v_add_lshl_u32 v5, v5, v2, 2
	ds_bpermute_b32 v5, v5, v4
	v_cmp_gt_u32_e32 vcc, 56, v3
	v_cndmask_b32_e64 v6, 0, 8, vcc
	v_add_lshl_u32 v6, v6, v2, 2
	v_cmp_gt_u32_e32 vcc, 60, v3
	s_waitcnt lgkmcnt(0)
	v_add_f32_e32 v4, v4, v5
	ds_bpermute_b32 v5, v6, v4
	v_cndmask_b32_e64 v6, 0, 4, vcc
	v_add_lshl_u32 v6, v6, v2, 2
	v_cmp_gt_u32_e32 vcc, 62, v3
	s_waitcnt lgkmcnt(0)
	v_add_f32_e32 v4, v4, v5
	ds_bpermute_b32 v5, v6, v4
	v_cndmask_b32_e64 v6, 0, 2, vcc
	v_add_lshl_u32 v6, v6, v2, 2
	v_cmp_ne_u32_e32 vcc, 63, v3
	v_addc_co_u32_e32 v3, vcc, 0, v2, vcc
	s_waitcnt lgkmcnt(0)
	v_add_f32_e32 v4, v4, v5
	ds_bpermute_b32 v5, v6, v4
	v_lshlrev_b32_e32 v3, 2, v3
	v_cmp_eq_u32_e32 vcc, 0, v1
	s_waitcnt lgkmcnt(0)
	v_add_f32_e32 v2, v4, v5
	ds_bpermute_b32 v3, v3, v2
	s_and_b64 exec, exec, vcc
	s_cbranch_execz .LBB10_16
; %bb.15:
	s_waitcnt lgkmcnt(0)
	v_add_f32_e32 v1, v2, v3
	v_mov_b32_e32 v2, 0
	ds_write_b32 v2, v1
.LBB10_16:
	s_or_b64 exec, exec, s[2:3]
	s_ashr_i32 s7, s6, 31
	s_lshl_b64 s[2:3], s[6:7], 2
	s_add_u32 s2, s18, s2
	s_addc_u32 s3, s19, s3
	s_waitcnt lgkmcnt(0)
	s_barrier
	s_load_dword s4, s[2:3], 0x0
	s_waitcnt lgkmcnt(0)
	v_div_scale_f32 v1, s[2:3], s4, s4, 1.0
	v_div_scale_f32 v2, vcc, 1.0, s4, 1.0
	v_rcp_f32_e32 v3, v1
	v_fma_f32 v4, -v1, v3, 1.0
	v_fmac_f32_e32 v3, v4, v3
	v_mul_f32_e32 v4, v2, v3
	v_fma_f32 v5, -v1, v4, v2
	v_fmac_f32_e32 v4, v5, v3
	v_fma_f32 v1, -v1, v4, v2
	v_div_fmas_f32 v2, v1, v3, v4
	v_mov_b32_e32 v1, 0
	ds_read_b32 v3, v1
	v_cmp_eq_u32_e32 vcc, 0, v0
	v_div_fixup_f32 v4, v2, s4, 1.0
	s_and_saveexec_b64 s[2:3], vcc
	s_cbranch_execz .LBB10_18
; %bb.17:
	s_waitcnt lgkmcnt(0)
	v_mul_f32_e32 v2, v3, v4
	v_bfe_u32 v5, v2, 16, 1
	v_add_u32_e32 v5, v2, v5
	s_lshl_b64 s[4:5], s[6:7], 1
	v_add_u32_e32 v5, 0x7fff, v5
	v_cmp_o_f32_e32 vcc, v2, v2
	v_mov_b32_e32 v2, 0x7fc0
	s_add_u32 s4, s10, s4
	v_cndmask_b32_sdwa v2, v2, v5, vcc dst_sel:DWORD dst_unused:UNUSED_PAD src0_sel:DWORD src1_sel:WORD_1
	s_addc_u32 s5, s11, s5
	global_store_short v1, v2, s[4:5]
.LBB10_18:
	s_or_b64 exec, exec, s[2:3]
	s_and_saveexec_b64 s[2:3], s[0:1]
	s_cbranch_execz .LBB10_28
; %bb.19:
	s_lshl_b64 s[0:1], s[6:7], 1
	s_add_u32 s0, s16, s0
	s_addc_u32 s1, s17, s1
	v_mov_b32_e32 v1, 0
	global_load_ushort v2, v1, s[0:1]
	v_add_u32_e32 v5, 1, v0
	v_max_i32_e32 v5, s22, v5
	s_and_b32 s0, s23, 0xffff
	v_sub_u32_e32 v7, v5, v0
	s_cmp_lg_u32 s0, 1
	v_cmp_gt_u32_e32 vcc, 2, v7
	s_cselect_b64 s[0:1], -1, 0
	v_mul_f32_e32 v1, v4, v4
	s_or_b64 s[2:3], vcc, s[0:1]
	s_mov_b64 s[0:1], 0
	s_and_saveexec_b64 s[4:5], s[2:3]
	s_xor_b64 s[2:3], exec, s[4:5]
; %bb.20:
	s_mov_b64 s[0:1], exec
                                        ; implicit-def: $vgpr7
; %bb.21:
	s_or_saveexec_b64 s[2:3], s[2:3]
	s_waitcnt vmcnt(0)
	v_lshlrev_b32_e32 v5, 16, v2
	v_mul_f32_e32 v6, v4, v1
	s_xor_b64 exec, exec, s[2:3]
	s_cbranch_execz .LBB10_25
; %bb.22:
	v_and_b32_e32 v8, -2, v7
	v_add_u32_e32 v1, s24, v0
	s_mov_b64 s[4:5], 0
	v_mov_b32_e32 v9, s13
	v_mov_b32_e32 v10, s15
	s_movk_i32 s6, 0x7fff
	v_mov_b32_e32 v11, 0x7fc0
	s_mov_b32 s7, 0x5040100
	v_mov_b32_e32 v12, s9
	v_mov_b32_e32 v13, 1
	;; [unrolled: 1-line block ×3, first 2 shown]
.LBB10_23:                              ; =>This Inner Loop Header: Depth=1
	v_ashrrev_i32_e32 v2, 31, v1
	v_lshlrev_b64 v[15:16], 1, v[1:2]
	v_add_u32_e32 v14, -2, v14
	v_add_co_u32_e32 v17, vcc, s12, v15
	v_addc_co_u32_e32 v18, vcc, v9, v16, vcc
	global_load_dword v2, v[17:18], off
	v_add_co_u32_e32 v17, vcc, s14, v15
	v_addc_co_u32_e32 v18, vcc, v10, v16, vcc
	global_load_dword v17, v[17:18], off
	v_cmp_eq_u32_e32 vcc, 0, v14
	s_or_b64 s[4:5], vcc, s[4:5]
	v_add_co_u32_e32 v15, vcc, s8, v15
	v_addc_co_u32_e32 v16, vcc, v12, v16, vcc
	v_add_u32_e32 v1, 2, v1
	s_waitcnt vmcnt(1)
	v_lshlrev_b32_e32 v18, 16, v2
	v_and_b32_e32 v2, 0xffff0000, v2
	s_waitcnt vmcnt(0)
	v_lshlrev_b32_e32 v19, 16, v17
	v_and_b32_e32 v17, 0xffff0000, v17
	v_mul_f32_e32 v17, v6, v17
	v_mul_f32_e32 v19, v6, v19
	s_waitcnt lgkmcnt(0)
	v_mul_f32_e32 v19, v3, v19
	v_mul_f32_e32 v17, v3, v17
	v_fma_f32 v2, v4, v2, -v17
	v_fma_f32 v17, v4, v18, -v19
	v_mul_f32_e32 v17, v17, v5
	v_mul_f32_e32 v2, v2, v5
	v_and_b32_sdwa v19, v17, v13 dst_sel:DWORD dst_unused:UNUSED_PAD src0_sel:WORD_1 src1_sel:DWORD
	v_and_b32_sdwa v18, v2, v13 dst_sel:DWORD dst_unused:UNUSED_PAD src0_sel:WORD_1 src1_sel:DWORD
	v_add3_u32 v19, v17, v19, s6
	v_add3_u32 v18, v2, v18, s6
	v_lshrrev_b32_e32 v19, 16, v19
	v_cmp_o_f32_e32 vcc, v17, v17
	v_lshrrev_b32_e32 v18, 16, v18
	v_cndmask_b32_e32 v17, v11, v19, vcc
	v_cmp_o_f32_e32 vcc, v2, v2
	v_cndmask_b32_e32 v2, v11, v18, vcc
	v_perm_b32 v2, v2, v17, s7
	global_store_dword v[15:16], v2, off
	s_andn2_b64 exec, exec, s[4:5]
	s_cbranch_execnz .LBB10_23
; %bb.24:
	s_or_b64 exec, exec, s[4:5]
	v_cmp_ne_u32_e32 vcc, v7, v8
	s_andn2_b64 s[0:1], s[0:1], exec
	s_and_b64 s[4:5], vcc, exec
	v_add_u32_e32 v0, v0, v8
	s_or_b64 s[0:1], s[0:1], s[4:5]
.LBB10_25:
	s_or_b64 exec, exec, s[2:3]
	s_and_b64 exec, exec, s[0:1]
	s_cbranch_execz .LBB10_28
; %bb.26:
	s_ashr_i32 s0, s24, 31
	v_ashrrev_i32_e32 v2, 31, v0
	v_mov_b32_e32 v7, s0
	v_add_co_u32_e32 v1, vcc, s24, v0
	v_addc_co_u32_e32 v2, vcc, v2, v7, vcc
	v_lshlrev_b64 v[1:2], 1, v[1:2]
	s_lshl_b32 s2, s23, 1
	s_mov_b64 s[0:1], 0
	v_mov_b32_e32 v7, s13
	v_mov_b32_e32 v8, s15
	s_movk_i32 s3, 0x7fff
	v_mov_b32_e32 v9, 0x7fc0
	v_mov_b32_e32 v10, s9
.LBB10_27:                              ; =>This Inner Loop Header: Depth=1
	v_add_co_u32_e32 v11, vcc, s12, v1
	v_addc_co_u32_e32 v12, vcc, v7, v2, vcc
	v_add_co_u32_e32 v13, vcc, s14, v1
	v_addc_co_u32_e32 v14, vcc, v8, v2, vcc
	global_load_ushort v15, v[13:14], off
	global_load_ushort v16, v[11:12], off
	v_add_co_u32_e32 v11, vcc, s8, v1
	v_addc_co_u32_e32 v12, vcc, v10, v2, vcc
	v_add_co_u32_e32 v1, vcc, s2, v1
	v_add_u32_e32 v0, s23, v0
	v_addc_co_u32_e32 v2, vcc, 0, v2, vcc
	v_cmp_le_i32_e32 vcc, s22, v0
	s_or_b64 s[0:1], vcc, s[0:1]
	s_waitcnt vmcnt(1)
	v_lshlrev_b32_e32 v13, 16, v15
	s_waitcnt vmcnt(0)
	v_lshlrev_b32_e32 v14, 16, v16
	v_mul_f32_e32 v14, v4, v14
	v_mul_f32_e32 v13, v6, v13
	s_waitcnt lgkmcnt(0)
	v_fma_f32 v13, -v3, v13, v14
	v_mul_f32_e32 v13, v13, v5
	v_bfe_u32 v14, v13, 16, 1
	v_add3_u32 v14, v13, v14, s3
	v_lshrrev_b32_e32 v14, 16, v14
	v_cmp_o_f32_e32 vcc, v13, v13
	v_cndmask_b32_e32 v13, v9, v14, vcc
	global_store_short v[11:12], v13, off
	s_andn2_b64 exec, exec, s[0:1]
	s_cbranch_execnz .LBB10_27
.LBB10_28:
	s_endpgm
	.section	.rodata,"a",@progbits
	.p2align	6, 0x0
	.amdhsa_kernel _ZN2at6native12_GLOBAL__N_132weight_norm_bwd_first_dim_kernelIN3c108BFloat16EfEEvPT_S6_PKS5_S8_S8_PKT0_i
		.amdhsa_group_segment_fixed_size 0
		.amdhsa_private_segment_fixed_size 0
		.amdhsa_kernarg_size 312
		.amdhsa_user_sgpr_count 6
		.amdhsa_user_sgpr_private_segment_buffer 1
		.amdhsa_user_sgpr_dispatch_ptr 0
		.amdhsa_user_sgpr_queue_ptr 0
		.amdhsa_user_sgpr_kernarg_segment_ptr 1
		.amdhsa_user_sgpr_dispatch_id 0
		.amdhsa_user_sgpr_flat_scratch_init 0
		.amdhsa_user_sgpr_private_segment_size 0
		.amdhsa_uses_dynamic_stack 0
		.amdhsa_system_sgpr_private_segment_wavefront_offset 0
		.amdhsa_system_sgpr_workgroup_id_x 1
		.amdhsa_system_sgpr_workgroup_id_y 0
		.amdhsa_system_sgpr_workgroup_id_z 0
		.amdhsa_system_sgpr_workgroup_info 0
		.amdhsa_system_vgpr_workitem_id 1
		.amdhsa_next_free_vgpr 20
		.amdhsa_next_free_sgpr 25
		.amdhsa_reserve_vcc 1
		.amdhsa_reserve_flat_scratch 0
		.amdhsa_float_round_mode_32 0
		.amdhsa_float_round_mode_16_64 0
		.amdhsa_float_denorm_mode_32 3
		.amdhsa_float_denorm_mode_16_64 3
		.amdhsa_dx10_clamp 1
		.amdhsa_ieee_mode 1
		.amdhsa_fp16_overflow 0
		.amdhsa_exception_fp_ieee_invalid_op 0
		.amdhsa_exception_fp_denorm_src 0
		.amdhsa_exception_fp_ieee_div_zero 0
		.amdhsa_exception_fp_ieee_overflow 0
		.amdhsa_exception_fp_ieee_underflow 0
		.amdhsa_exception_fp_ieee_inexact 0
		.amdhsa_exception_int_div_zero 0
	.end_amdhsa_kernel
	.section	.text._ZN2at6native12_GLOBAL__N_132weight_norm_bwd_first_dim_kernelIN3c108BFloat16EfEEvPT_S6_PKS5_S8_S8_PKT0_i,"axG",@progbits,_ZN2at6native12_GLOBAL__N_132weight_norm_bwd_first_dim_kernelIN3c108BFloat16EfEEvPT_S6_PKS5_S8_S8_PKT0_i,comdat
.Lfunc_end10:
	.size	_ZN2at6native12_GLOBAL__N_132weight_norm_bwd_first_dim_kernelIN3c108BFloat16EfEEvPT_S6_PKS5_S8_S8_PKT0_i, .Lfunc_end10-_ZN2at6native12_GLOBAL__N_132weight_norm_bwd_first_dim_kernelIN3c108BFloat16EfEEvPT_S6_PKS5_S8_S8_PKT0_i
                                        ; -- End function
	.set _ZN2at6native12_GLOBAL__N_132weight_norm_bwd_first_dim_kernelIN3c108BFloat16EfEEvPT_S6_PKS5_S8_S8_PKT0_i.num_vgpr, 20
	.set _ZN2at6native12_GLOBAL__N_132weight_norm_bwd_first_dim_kernelIN3c108BFloat16EfEEvPT_S6_PKS5_S8_S8_PKT0_i.num_agpr, 0
	.set _ZN2at6native12_GLOBAL__N_132weight_norm_bwd_first_dim_kernelIN3c108BFloat16EfEEvPT_S6_PKS5_S8_S8_PKT0_i.numbered_sgpr, 25
	.set _ZN2at6native12_GLOBAL__N_132weight_norm_bwd_first_dim_kernelIN3c108BFloat16EfEEvPT_S6_PKS5_S8_S8_PKT0_i.num_named_barrier, 0
	.set _ZN2at6native12_GLOBAL__N_132weight_norm_bwd_first_dim_kernelIN3c108BFloat16EfEEvPT_S6_PKS5_S8_S8_PKT0_i.private_seg_size, 0
	.set _ZN2at6native12_GLOBAL__N_132weight_norm_bwd_first_dim_kernelIN3c108BFloat16EfEEvPT_S6_PKS5_S8_S8_PKT0_i.uses_vcc, 1
	.set _ZN2at6native12_GLOBAL__N_132weight_norm_bwd_first_dim_kernelIN3c108BFloat16EfEEvPT_S6_PKS5_S8_S8_PKT0_i.uses_flat_scratch, 0
	.set _ZN2at6native12_GLOBAL__N_132weight_norm_bwd_first_dim_kernelIN3c108BFloat16EfEEvPT_S6_PKS5_S8_S8_PKT0_i.has_dyn_sized_stack, 0
	.set _ZN2at6native12_GLOBAL__N_132weight_norm_bwd_first_dim_kernelIN3c108BFloat16EfEEvPT_S6_PKS5_S8_S8_PKT0_i.has_recursion, 0
	.set _ZN2at6native12_GLOBAL__N_132weight_norm_bwd_first_dim_kernelIN3c108BFloat16EfEEvPT_S6_PKS5_S8_S8_PKT0_i.has_indirect_call, 0
	.section	.AMDGPU.csdata,"",@progbits
; Kernel info:
; codeLenInByte = 1480
; TotalNumSgprs: 29
; NumVgprs: 20
; ScratchSize: 0
; MemoryBound: 0
; FloatMode: 240
; IeeeMode: 1
; LDSByteSize: 0 bytes/workgroup (compile time only)
; SGPRBlocks: 3
; VGPRBlocks: 4
; NumSGPRsForWavesPerEU: 29
; NumVGPRsForWavesPerEU: 20
; Occupancy: 10
; WaveLimiterHint : 0
; COMPUTE_PGM_RSRC2:SCRATCH_EN: 0
; COMPUTE_PGM_RSRC2:USER_SGPR: 6
; COMPUTE_PGM_RSRC2:TRAP_HANDLER: 0
; COMPUTE_PGM_RSRC2:TGID_X_EN: 1
; COMPUTE_PGM_RSRC2:TGID_Y_EN: 0
; COMPUTE_PGM_RSRC2:TGID_Z_EN: 0
; COMPUTE_PGM_RSRC2:TIDIG_COMP_CNT: 1
	.section	.text._ZN2at6native12_GLOBAL__N_132weight_norm_bwd_first_dim_kernelIN3c104HalfEfEEvPT_S6_PKS5_S8_S8_PKT0_i,"axG",@progbits,_ZN2at6native12_GLOBAL__N_132weight_norm_bwd_first_dim_kernelIN3c104HalfEfEEvPT_S6_PKS5_S8_S8_PKT0_i,comdat
	.globl	_ZN2at6native12_GLOBAL__N_132weight_norm_bwd_first_dim_kernelIN3c104HalfEfEEvPT_S6_PKS5_S8_S8_PKT0_i ; -- Begin function _ZN2at6native12_GLOBAL__N_132weight_norm_bwd_first_dim_kernelIN3c104HalfEfEEvPT_S6_PKS5_S8_S8_PKT0_i
	.p2align	8
	.type	_ZN2at6native12_GLOBAL__N_132weight_norm_bwd_first_dim_kernelIN3c104HalfEfEEvPT_S6_PKS5_S8_S8_PKT0_i,@function
_ZN2at6native12_GLOBAL__N_132weight_norm_bwd_first_dim_kernelIN3c104HalfEfEEvPT_S6_PKS5_S8_S8_PKT0_i: ; @_ZN2at6native12_GLOBAL__N_132weight_norm_bwd_first_dim_kernelIN3c104HalfEfEEvPT_S6_PKS5_S8_S8_PKT0_i
; %bb.0:
	s_load_dwordx4 s[16:19], s[4:5], 0x20
	s_load_dword s0, s[4:5], 0x44
	s_load_dword s22, s[4:5], 0x30
	s_load_dwordx8 s[8:15], s[4:5], 0x0
	s_add_u32 s2, s4, 56
	s_addc_u32 s3, s5, 0
	s_waitcnt lgkmcnt(0)
	s_and_b32 s23, s0, 0xffff
	s_mul_i32 s24, s22, s6
	v_cmp_gt_i32_e64 s[0:1], s22, v0
	v_mov_b32_e32 v4, 0
	s_and_saveexec_b64 s[4:5], s[0:1]
	s_cbranch_execz .LBB11_4
; %bb.1:
	v_add_u32_e32 v2, s24, v0
	v_ashrrev_i32_e32 v3, 31, v2
	v_lshlrev_b64 v[2:3], 1, v[2:3]
	s_lshl_b32 s7, s23, 1
	v_mov_b32_e32 v4, 0
	s_mov_b64 s[20:21], 0
	v_mov_b32_e32 v5, s13
	v_mov_b32_e32 v6, s15
	;; [unrolled: 1-line block ×3, first 2 shown]
.LBB11_2:                               ; =>This Inner Loop Header: Depth=1
	v_add_co_u32_e32 v8, vcc, s12, v2
	v_addc_co_u32_e32 v9, vcc, v5, v3, vcc
	v_add_co_u32_e32 v10, vcc, s14, v2
	v_addc_co_u32_e32 v11, vcc, v6, v3, vcc
	global_load_ushort v12, v[8:9], off
	global_load_ushort v13, v[10:11], off
	v_add_co_u32_e32 v2, vcc, s7, v2
	v_add_u32_e32 v7, s23, v7
	v_addc_co_u32_e32 v3, vcc, 0, v3, vcc
	v_cmp_le_i32_e32 vcc, s22, v7
	s_or_b64 s[20:21], vcc, s[20:21]
	s_waitcnt vmcnt(0)
	v_fma_mix_f32 v4, v12, v13, v4 op_sel_hi:[1,1,0]
	s_andn2_b64 exec, exec, s[20:21]
	s_cbranch_execnz .LBB11_2
; %bb.3:
	s_or_b64 exec, exec, s[20:21]
.LBB11_4:
	s_or_b64 exec, exec, s[4:5]
	s_load_dword s2, s[2:3], 0xc
	v_mad_u32_u24 v1, v1, s23, v0
	s_waitcnt lgkmcnt(0)
	s_lshr_b32 s2, s2, 16
	s_mul_i32 s2, s2, s23
	s_cmp_gt_i32 s2, 63
	s_cselect_b64 s[4:5], -1, 0
	s_cmp_lt_i32 s2, 64
	s_cbranch_scc1 .LBB11_6
; %bb.5:
	v_lshl_add_u32 v2, v1, 2, 0
	ds_write_b32 v2, v4
	s_waitcnt lgkmcnt(0)
	s_barrier
.LBB11_6:
	s_ashr_i32 s7, s2, 1
	s_cmp_lt_i32 s7, 64
	s_cbranch_scc1 .LBB11_11
; %bb.7:
	v_lshl_add_u32 v2, v1, 2, 0
	s_branch .LBB11_9
.LBB11_8:                               ;   in Loop: Header=BB11_9 Depth=1
	s_or_b64 exec, exec, s[2:3]
	s_lshr_b32 s2, s7, 1
	s_cmpk_lt_u32 s7, 0x80
	s_mov_b32 s7, s2
	s_waitcnt lgkmcnt(0)
	s_barrier
	s_cbranch_scc1 .LBB11_11
.LBB11_9:                               ; =>This Inner Loop Header: Depth=1
	v_cmp_gt_i32_e32 vcc, s7, v1
	s_and_saveexec_b64 s[2:3], vcc
	s_cbranch_execz .LBB11_8
; %bb.10:                               ;   in Loop: Header=BB11_9 Depth=1
	v_lshl_add_u32 v3, s7, 2, v2
	ds_read_b32 v5, v2
	ds_read_b32 v3, v3
	s_waitcnt lgkmcnt(0)
	v_add_f32_e32 v3, v5, v3
	ds_write_b32 v2, v3
	s_branch .LBB11_8
.LBB11_11:
	v_cmp_gt_u32_e32 vcc, 32, v1
	s_and_saveexec_b64 s[2:3], vcc
	s_cbranch_execz .LBB11_16
; %bb.12:
	s_andn2_b64 vcc, exec, s[4:5]
	s_cbranch_vccnz .LBB11_14
; %bb.13:
	v_lshl_add_u32 v2, v1, 2, 0
	ds_read2_b32 v[2:3], v2 offset1:32
	s_waitcnt lgkmcnt(0)
	v_add_f32_e32 v4, v2, v3
.LBB11_14:
	v_mbcnt_lo_u32_b32 v2, -1, 0
	v_mbcnt_hi_u32_b32 v2, -1, v2
	v_and_b32_e32 v3, 63, v2
	v_cmp_gt_u32_e32 vcc, 48, v3
	v_cndmask_b32_e64 v5, 0, 16, vcc
	v_add_lshl_u32 v5, v5, v2, 2
	ds_bpermute_b32 v5, v5, v4
	v_cmp_gt_u32_e32 vcc, 56, v3
	v_cndmask_b32_e64 v6, 0, 8, vcc
	v_add_lshl_u32 v6, v6, v2, 2
	v_cmp_gt_u32_e32 vcc, 60, v3
	s_waitcnt lgkmcnt(0)
	v_add_f32_e32 v4, v4, v5
	ds_bpermute_b32 v5, v6, v4
	v_cndmask_b32_e64 v6, 0, 4, vcc
	v_add_lshl_u32 v6, v6, v2, 2
	v_cmp_gt_u32_e32 vcc, 62, v3
	s_waitcnt lgkmcnt(0)
	v_add_f32_e32 v4, v4, v5
	ds_bpermute_b32 v5, v6, v4
	v_cndmask_b32_e64 v6, 0, 2, vcc
	v_add_lshl_u32 v6, v6, v2, 2
	v_cmp_ne_u32_e32 vcc, 63, v3
	v_addc_co_u32_e32 v3, vcc, 0, v2, vcc
	s_waitcnt lgkmcnt(0)
	v_add_f32_e32 v4, v4, v5
	ds_bpermute_b32 v5, v6, v4
	v_lshlrev_b32_e32 v3, 2, v3
	v_cmp_eq_u32_e32 vcc, 0, v1
	s_waitcnt lgkmcnt(0)
	v_add_f32_e32 v2, v4, v5
	ds_bpermute_b32 v3, v3, v2
	s_and_b64 exec, exec, vcc
	s_cbranch_execz .LBB11_16
; %bb.15:
	s_waitcnt lgkmcnt(0)
	v_add_f32_e32 v1, v2, v3
	v_mov_b32_e32 v2, 0
	ds_write_b32 v2, v1
.LBB11_16:
	s_or_b64 exec, exec, s[2:3]
	s_ashr_i32 s7, s6, 31
	s_lshl_b64 s[2:3], s[6:7], 2
	s_add_u32 s2, s18, s2
	s_addc_u32 s3, s19, s3
	s_waitcnt lgkmcnt(0)
	s_barrier
	s_load_dword s4, s[2:3], 0x0
	s_waitcnt lgkmcnt(0)
	v_div_scale_f32 v1, s[2:3], s4, s4, 1.0
	v_div_scale_f32 v2, vcc, 1.0, s4, 1.0
	v_rcp_f32_e32 v3, v1
	v_fma_f32 v4, -v1, v3, 1.0
	v_fmac_f32_e32 v3, v4, v3
	v_mul_f32_e32 v4, v2, v3
	v_fma_f32 v5, -v1, v4, v2
	v_fmac_f32_e32 v4, v5, v3
	v_fma_f32 v1, -v1, v4, v2
	v_div_fmas_f32 v2, v1, v3, v4
	v_mov_b32_e32 v1, 0
	ds_read_b32 v3, v1
	v_cmp_eq_u32_e32 vcc, 0, v0
	v_div_fixup_f32 v4, v2, s4, 1.0
	s_and_saveexec_b64 s[2:3], vcc
	s_cbranch_execz .LBB11_18
; %bb.17:
	s_lshl_b64 s[4:5], s[6:7], 1
	s_add_u32 s4, s10, s4
	s_addc_u32 s5, s11, s5
	s_waitcnt lgkmcnt(0)
	v_fma_mixlo_f16 v2, v3, v4, 0
	global_store_short v1, v2, s[4:5]
.LBB11_18:
	s_or_b64 exec, exec, s[2:3]
	s_and_saveexec_b64 s[2:3], s[0:1]
	s_cbranch_execz .LBB11_26
; %bb.19:
	s_lshl_b64 s[0:1], s[6:7], 1
	s_add_u32 s0, s16, s0
	s_addc_u32 s1, s17, s1
	v_mov_b32_e32 v1, 0
	global_load_ushort v1, v1, s[0:1]
	v_mul_f32_e32 v2, v4, v4
	v_add_u32_e32 v6, 1, v0
	v_mul_f32_e32 v5, v4, v2
	v_max_i32_e32 v2, s22, v6
	s_and_b32 s0, s23, 0xffff
	v_sub_u32_e32 v7, v2, v0
	s_cmp_eq_u32 s0, 1
	v_cmp_lt_u32_e32 vcc, 1, v7
	s_cselect_b64 s[0:1], -1, 0
	s_and_b64 s[4:5], vcc, s[0:1]
	s_mov_b64 s[2:3], -1
	s_waitcnt vmcnt(0)
	v_cvt_f32_f16_e32 v6, v1
	s_and_saveexec_b64 s[0:1], s[4:5]
	s_cbranch_execz .LBB11_23
; %bb.20:
	v_and_b32_e32 v8, -2, v7
	v_add_u32_e32 v1, s24, v0
	s_mov_b64 s[2:3], 0
	v_mov_b32_e32 v9, s13
	v_mov_b32_e32 v10, s15
	;; [unrolled: 1-line block ×4, first 2 shown]
.LBB11_21:                              ; =>This Inner Loop Header: Depth=1
	v_ashrrev_i32_e32 v2, 31, v1
	v_lshlrev_b64 v[13:14], 1, v[1:2]
	v_add_u32_e32 v12, -2, v12
	v_add_co_u32_e32 v15, vcc, s14, v13
	v_addc_co_u32_e32 v16, vcc, v10, v14, vcc
	global_load_dword v2, v[15:16], off
	v_add_co_u32_e32 v15, vcc, s12, v13
	v_addc_co_u32_e32 v16, vcc, v9, v14, vcc
	global_load_dword v15, v[15:16], off
	v_cmp_eq_u32_e32 vcc, 0, v12
	s_or_b64 s[2:3], vcc, s[2:3]
	v_add_co_u32_e32 v13, vcc, s8, v13
	v_addc_co_u32_e32 v14, vcc, v11, v14, vcc
	v_add_u32_e32 v1, 2, v1
	s_waitcnt vmcnt(1)
	v_cvt_f32_f16_e32 v16, v2
	v_cvt_f32_f16_sdwa v2, v2 dst_sel:DWORD dst_unused:UNUSED_PAD src0_sel:WORD_1
	v_mul_f32_e32 v16, v5, v16
	v_mul_f32_e32 v2, v5, v2
	s_waitcnt lgkmcnt(0)
	v_mul_f32_e32 v16, v3, v16
	v_mul_f32_e32 v2, v3, v2
	s_waitcnt vmcnt(0)
	v_fma_mix_f32 v2, v4, v15, -v2 op_sel:[0,1,0] op_sel_hi:[0,1,0]
	v_fma_mix_f32 v15, v4, v15, -v16 op_sel_hi:[0,1,0]
	v_fma_mixlo_f16 v15, v15, v6, 0
	v_fma_mixhi_f16 v15, v2, v6, 0
	global_store_dword v[13:14], v15, off
	s_andn2_b64 exec, exec, s[2:3]
	s_cbranch_execnz .LBB11_21
; %bb.22:
	s_or_b64 exec, exec, s[2:3]
	v_cmp_ne_u32_e32 vcc, v7, v8
	v_add_u32_e32 v0, v0, v8
	s_orn2_b64 s[2:3], vcc, exec
.LBB11_23:
	s_or_b64 exec, exec, s[0:1]
	s_and_b64 exec, exec, s[2:3]
	s_cbranch_execz .LBB11_26
; %bb.24:
	s_ashr_i32 s0, s24, 31
	v_ashrrev_i32_e32 v2, 31, v0
	v_mov_b32_e32 v7, s0
	v_add_co_u32_e32 v1, vcc, s24, v0
	v_addc_co_u32_e32 v2, vcc, v2, v7, vcc
	v_lshlrev_b64 v[1:2], 1, v[1:2]
	s_lshl_b32 s2, s23, 1
	s_mov_b64 s[0:1], 0
	v_mov_b32_e32 v7, s13
	v_mov_b32_e32 v8, s15
	;; [unrolled: 1-line block ×3, first 2 shown]
.LBB11_25:                              ; =>This Inner Loop Header: Depth=1
	v_add_co_u32_e32 v10, vcc, s14, v1
	v_addc_co_u32_e32 v11, vcc, v8, v2, vcc
	global_load_ushort v12, v[10:11], off
	v_add_co_u32_e32 v10, vcc, s12, v1
	v_addc_co_u32_e32 v11, vcc, v7, v2, vcc
	global_load_ushort v13, v[10:11], off
	v_add_co_u32_e32 v10, vcc, s8, v1
	v_addc_co_u32_e32 v11, vcc, v9, v2, vcc
	v_add_co_u32_e32 v1, vcc, s2, v1
	v_add_u32_e32 v0, s23, v0
	v_addc_co_u32_e32 v2, vcc, 0, v2, vcc
	v_cmp_le_i32_e32 vcc, s22, v0
	s_or_b64 s[0:1], vcc, s[0:1]
	s_waitcnt vmcnt(1)
	v_cvt_f32_f16_e32 v12, v12
	v_mul_f32_e32 v12, v5, v12
	s_waitcnt lgkmcnt(0)
	v_mul_f32_e32 v12, v3, v12
	s_waitcnt vmcnt(0)
	v_fma_mix_f32 v12, v4, v13, -v12 op_sel_hi:[0,1,0]
	v_fma_mixlo_f16 v12, v12, v6, 0
	global_store_short v[10:11], v12, off
	s_andn2_b64 exec, exec, s[0:1]
	s_cbranch_execnz .LBB11_25
.LBB11_26:
	s_endpgm
	.section	.rodata,"a",@progbits
	.p2align	6, 0x0
	.amdhsa_kernel _ZN2at6native12_GLOBAL__N_132weight_norm_bwd_first_dim_kernelIN3c104HalfEfEEvPT_S6_PKS5_S8_S8_PKT0_i
		.amdhsa_group_segment_fixed_size 0
		.amdhsa_private_segment_fixed_size 0
		.amdhsa_kernarg_size 312
		.amdhsa_user_sgpr_count 6
		.amdhsa_user_sgpr_private_segment_buffer 1
		.amdhsa_user_sgpr_dispatch_ptr 0
		.amdhsa_user_sgpr_queue_ptr 0
		.amdhsa_user_sgpr_kernarg_segment_ptr 1
		.amdhsa_user_sgpr_dispatch_id 0
		.amdhsa_user_sgpr_flat_scratch_init 0
		.amdhsa_user_sgpr_private_segment_size 0
		.amdhsa_uses_dynamic_stack 0
		.amdhsa_system_sgpr_private_segment_wavefront_offset 0
		.amdhsa_system_sgpr_workgroup_id_x 1
		.amdhsa_system_sgpr_workgroup_id_y 0
		.amdhsa_system_sgpr_workgroup_id_z 0
		.amdhsa_system_sgpr_workgroup_info 0
		.amdhsa_system_vgpr_workitem_id 1
		.amdhsa_next_free_vgpr 17
		.amdhsa_next_free_sgpr 25
		.amdhsa_reserve_vcc 1
		.amdhsa_reserve_flat_scratch 0
		.amdhsa_float_round_mode_32 0
		.amdhsa_float_round_mode_16_64 0
		.amdhsa_float_denorm_mode_32 3
		.amdhsa_float_denorm_mode_16_64 3
		.amdhsa_dx10_clamp 1
		.amdhsa_ieee_mode 1
		.amdhsa_fp16_overflow 0
		.amdhsa_exception_fp_ieee_invalid_op 0
		.amdhsa_exception_fp_denorm_src 0
		.amdhsa_exception_fp_ieee_div_zero 0
		.amdhsa_exception_fp_ieee_overflow 0
		.amdhsa_exception_fp_ieee_underflow 0
		.amdhsa_exception_fp_ieee_inexact 0
		.amdhsa_exception_int_div_zero 0
	.end_amdhsa_kernel
	.section	.text._ZN2at6native12_GLOBAL__N_132weight_norm_bwd_first_dim_kernelIN3c104HalfEfEEvPT_S6_PKS5_S8_S8_PKT0_i,"axG",@progbits,_ZN2at6native12_GLOBAL__N_132weight_norm_bwd_first_dim_kernelIN3c104HalfEfEEvPT_S6_PKS5_S8_S8_PKT0_i,comdat
.Lfunc_end11:
	.size	_ZN2at6native12_GLOBAL__N_132weight_norm_bwd_first_dim_kernelIN3c104HalfEfEEvPT_S6_PKS5_S8_S8_PKT0_i, .Lfunc_end11-_ZN2at6native12_GLOBAL__N_132weight_norm_bwd_first_dim_kernelIN3c104HalfEfEEvPT_S6_PKS5_S8_S8_PKT0_i
                                        ; -- End function
	.set _ZN2at6native12_GLOBAL__N_132weight_norm_bwd_first_dim_kernelIN3c104HalfEfEEvPT_S6_PKS5_S8_S8_PKT0_i.num_vgpr, 17
	.set _ZN2at6native12_GLOBAL__N_132weight_norm_bwd_first_dim_kernelIN3c104HalfEfEEvPT_S6_PKS5_S8_S8_PKT0_i.num_agpr, 0
	.set _ZN2at6native12_GLOBAL__N_132weight_norm_bwd_first_dim_kernelIN3c104HalfEfEEvPT_S6_PKS5_S8_S8_PKT0_i.numbered_sgpr, 25
	.set _ZN2at6native12_GLOBAL__N_132weight_norm_bwd_first_dim_kernelIN3c104HalfEfEEvPT_S6_PKS5_S8_S8_PKT0_i.num_named_barrier, 0
	.set _ZN2at6native12_GLOBAL__N_132weight_norm_bwd_first_dim_kernelIN3c104HalfEfEEvPT_S6_PKS5_S8_S8_PKT0_i.private_seg_size, 0
	.set _ZN2at6native12_GLOBAL__N_132weight_norm_bwd_first_dim_kernelIN3c104HalfEfEEvPT_S6_PKS5_S8_S8_PKT0_i.uses_vcc, 1
	.set _ZN2at6native12_GLOBAL__N_132weight_norm_bwd_first_dim_kernelIN3c104HalfEfEEvPT_S6_PKS5_S8_S8_PKT0_i.uses_flat_scratch, 0
	.set _ZN2at6native12_GLOBAL__N_132weight_norm_bwd_first_dim_kernelIN3c104HalfEfEEvPT_S6_PKS5_S8_S8_PKT0_i.has_dyn_sized_stack, 0
	.set _ZN2at6native12_GLOBAL__N_132weight_norm_bwd_first_dim_kernelIN3c104HalfEfEEvPT_S6_PKS5_S8_S8_PKT0_i.has_recursion, 0
	.set _ZN2at6native12_GLOBAL__N_132weight_norm_bwd_first_dim_kernelIN3c104HalfEfEEvPT_S6_PKS5_S8_S8_PKT0_i.has_indirect_call, 0
	.section	.AMDGPU.csdata,"",@progbits
; Kernel info:
; codeLenInByte = 1280
; TotalNumSgprs: 29
; NumVgprs: 17
; ScratchSize: 0
; MemoryBound: 0
; FloatMode: 240
; IeeeMode: 1
; LDSByteSize: 0 bytes/workgroup (compile time only)
; SGPRBlocks: 3
; VGPRBlocks: 4
; NumSGPRsForWavesPerEU: 29
; NumVGPRsForWavesPerEU: 17
; Occupancy: 10
; WaveLimiterHint : 0
; COMPUTE_PGM_RSRC2:SCRATCH_EN: 0
; COMPUTE_PGM_RSRC2:USER_SGPR: 6
; COMPUTE_PGM_RSRC2:TRAP_HANDLER: 0
; COMPUTE_PGM_RSRC2:TGID_X_EN: 1
; COMPUTE_PGM_RSRC2:TGID_Y_EN: 0
; COMPUTE_PGM_RSRC2:TGID_Z_EN: 0
; COMPUTE_PGM_RSRC2:TIDIG_COMP_CNT: 1
	.section	.text._ZN2at6native12_GLOBAL__N_131weight_norm_bwd_last_dim_kernelIddEEvPT_S4_PKS3_S6_S6_PKT0_ii,"axG",@progbits,_ZN2at6native12_GLOBAL__N_131weight_norm_bwd_last_dim_kernelIddEEvPT_S4_PKS3_S6_S6_PKT0_ii,comdat
	.globl	_ZN2at6native12_GLOBAL__N_131weight_norm_bwd_last_dim_kernelIddEEvPT_S4_PKS3_S6_S6_PKT0_ii ; -- Begin function _ZN2at6native12_GLOBAL__N_131weight_norm_bwd_last_dim_kernelIddEEvPT_S4_PKS3_S6_S6_PKT0_ii
	.p2align	8
	.type	_ZN2at6native12_GLOBAL__N_131weight_norm_bwd_last_dim_kernelIddEEvPT_S4_PKS3_S6_S6_PKT0_ii,@function
_ZN2at6native12_GLOBAL__N_131weight_norm_bwd_last_dim_kernelIddEEvPT_S4_PKS3_S6_S6_PKT0_ii: ; @_ZN2at6native12_GLOBAL__N_131weight_norm_bwd_last_dim_kernelIddEEvPT_S4_PKS3_S6_S6_PKT0_ii
; %bb.0:
	s_load_dword s0, s[4:5], 0x44
	s_load_dwordx8 s[8:15], s[4:5], 0x0
	s_load_dwordx4 s[16:19], s[4:5], 0x20
	s_load_dwordx2 s[2:3], s[4:5], 0x30
	s_waitcnt lgkmcnt(0)
	s_and_b32 s21, s0, 0xffff
	s_mul_i32 s6, s6, s21
	v_add_u32_e32 v4, s6, v0
	s_lshr_b32 s20, s0, 16
	v_mad_u64_u32 v[2:3], s[0:1], s2, v1, v[4:5]
	v_cmp_gt_i32_e32 vcc, s2, v4
	v_cmp_gt_i32_e64 s[0:1], s3, v1
	v_mov_b32_e32 v5, 0
	s_and_b64 s[0:1], vcc, s[0:1]
	v_mov_b32_e32 v6, 0
	s_mul_i32 s2, s2, s20
	s_and_saveexec_b64 s[4:5], s[0:1]
	s_cbranch_execz .LBB12_4
; %bb.1:
	v_mov_b32_e32 v5, 0
	v_mov_b32_e32 v6, 0
	s_mov_b64 s[6:7], 0
	v_mov_b32_e32 v3, s13
	v_mov_b32_e32 v9, s15
	;; [unrolled: 1-line block ×4, first 2 shown]
.LBB12_2:                               ; =>This Inner Loop Header: Depth=1
	v_ashrrev_i32_e32 v8, 31, v7
	v_lshlrev_b64 v[11:12], 3, v[7:8]
	v_add_u32_e32 v10, s20, v10
	v_add_co_u32_e32 v13, vcc, s12, v11
	v_addc_co_u32_e32 v14, vcc, v3, v12, vcc
	v_add_co_u32_e32 v11, vcc, s14, v11
	v_addc_co_u32_e32 v12, vcc, v9, v12, vcc
	global_load_dwordx2 v[13:14], v[13:14], off
	v_cmp_le_i32_e32 vcc, s3, v10
	global_load_dwordx2 v[11:12], v[11:12], off
	s_or_b64 s[6:7], vcc, s[6:7]
	v_add_u32_e32 v7, s2, v7
	s_waitcnt vmcnt(0)
	v_fma_f64 v[5:6], v[13:14], v[11:12], v[5:6]
	s_andn2_b64 exec, exec, s[6:7]
	s_cbranch_execnz .LBB12_2
; %bb.3:
	s_or_b64 exec, exec, s[6:7]
.LBB12_4:
	s_or_b64 exec, exec, s[4:5]
	s_mul_i32 s4, s20, s21
	v_mad_u32_u24 v7, v1, s21, v0
	s_cmp_gt_i32 s4, 63
	s_cselect_b64 s[6:7], -1, 0
	s_cmp_lt_i32 s4, 64
	v_lshl_add_u32 v3, v7, 3, 0
	s_cbranch_scc1 .LBB12_6
; %bb.5:
	ds_write_b64 v3, v[5:6]
	s_waitcnt lgkmcnt(0)
	s_barrier
.LBB12_6:
	s_ashr_i32 s22, s4, 1
	s_cmp_lt_i32 s22, 64
	s_cbranch_scc0 .LBB12_22
.LBB12_7:
	v_cmp_gt_u32_e32 vcc, 32, v7
	s_and_saveexec_b64 s[4:5], vcc
	s_cbranch_execz .LBB12_15
; %bb.8:
	s_andn2_b64 vcc, exec, s[6:7]
	s_cbranch_vccnz .LBB12_10
; %bb.9:
	ds_read2_b64 v[8:11], v3 offset1:32
	s_waitcnt lgkmcnt(0)
	v_add_f64 v[5:6], v[8:9], v[10:11]
.LBB12_10:
	s_cmp_gt_u32 s21, 16
	s_mov_b32 s6, 16
	s_cbranch_scc1 .LBB12_13
; %bb.11:
	v_mbcnt_lo_u32_b32 v8, -1, 0
	v_mbcnt_hi_u32_b32 v8, -1, v8
	v_and_b32_e32 v9, 63, v8
	v_sub_u32_e32 v9, 64, v9
.LBB12_12:                              ; =>This Inner Loop Header: Depth=1
	v_mov_b32_e32 v10, s6
	v_cmp_lt_u32_e32 vcc, s6, v9
	v_cndmask_b32_e32 v10, 0, v10, vcc
	v_add_lshl_u32 v11, v10, v8, 2
	ds_bpermute_b32 v10, v11, v5
	ds_bpermute_b32 v11, v11, v6
	s_lshr_b32 s6, s6, 1
	s_cmp_lt_u32 s6, s21
	s_waitcnt lgkmcnt(0)
	v_add_f64 v[5:6], v[5:6], v[10:11]
	s_cbranch_scc0 .LBB12_12
.LBB12_13:
	v_cmp_gt_u32_e32 vcc, s21, v7
	s_and_b64 exec, exec, vcc
; %bb.14:
	ds_write_b64 v3, v[5:6]
.LBB12_15:
	s_or_b64 exec, exec, s[4:5]
	v_ashrrev_i32_e32 v5, 31, v4
	v_lshlrev_b64 v[8:9], 3, v[4:5]
	v_mov_b32_e32 v4, s19
	v_add_co_u32_e32 v3, vcc, s18, v8
	v_addc_co_u32_e32 v4, vcc, v4, v9, vcc
	s_waitcnt lgkmcnt(0)
	s_barrier
	global_load_dwordx2 v[3:4], v[3:4], off
	v_lshl_add_u32 v0, v0, 3, 0
	s_waitcnt vmcnt(0)
	v_div_scale_f64 v[5:6], s[4:5], v[3:4], v[3:4], 1.0
	v_div_scale_f64 v[14:15], vcc, 1.0, v[3:4], 1.0
	v_rcp_f64_e32 v[10:11], v[5:6]
	v_fma_f64 v[12:13], -v[5:6], v[10:11], 1.0
	v_fma_f64 v[10:11], v[10:11], v[12:13], v[10:11]
	v_fma_f64 v[12:13], -v[5:6], v[10:11], 1.0
	v_fma_f64 v[10:11], v[10:11], v[12:13], v[10:11]
	v_mul_f64 v[12:13], v[14:15], v[10:11]
	v_fma_f64 v[5:6], -v[5:6], v[12:13], v[14:15]
	v_div_fmas_f64 v[5:6], v[5:6], v[10:11], v[12:13]
	v_cmp_eq_u32_e32 vcc, 0, v1
	v_div_fixup_f64 v[4:5], v[5:6], v[3:4], 1.0
	ds_read_b64 v[6:7], v0
	s_and_saveexec_b64 s[4:5], vcc
	s_cbranch_execz .LBB12_17
; %bb.16:
	s_waitcnt lgkmcnt(0)
	v_mul_f64 v[10:11], v[6:7], v[4:5]
	v_mov_b32_e32 v0, s11
	v_add_co_u32_e32 v12, vcc, s10, v8
	v_addc_co_u32_e32 v13, vcc, v0, v9, vcc
	global_store_dwordx2 v[12:13], v[10:11], off
.LBB12_17:
	s_or_b64 exec, exec, s[4:5]
	s_and_saveexec_b64 s[4:5], s[0:1]
	s_cbranch_execz .LBB12_20
; %bb.18:
	v_mov_b32_e32 v0, s17
	v_add_co_u32_e32 v8, vcc, s16, v8
	v_addc_co_u32_e32 v9, vcc, v0, v9, vcc
	global_load_dwordx2 v[8:9], v[8:9], off
	v_mul_f64 v[10:11], v[4:5], v[4:5]
	s_mov_b64 s[0:1], 0
	v_mov_b32_e32 v0, s13
	v_mov_b32_e32 v12, s15
	;; [unrolled: 1-line block ×3, first 2 shown]
	v_mul_f64 v[10:11], v[4:5], v[10:11]
.LBB12_19:                              ; =>This Inner Loop Header: Depth=1
	v_ashrrev_i32_e32 v3, 31, v2
	v_lshlrev_b64 v[14:15], 3, v[2:3]
	v_add_u32_e32 v1, s20, v1
	v_add_co_u32_e32 v16, vcc, s14, v14
	v_addc_co_u32_e32 v17, vcc, v12, v15, vcc
	global_load_dwordx2 v[16:17], v[16:17], off
	v_add_co_u32_e32 v18, vcc, s12, v14
	v_addc_co_u32_e32 v19, vcc, v0, v15, vcc
	global_load_dwordx2 v[18:19], v[18:19], off
	v_cmp_le_i32_e32 vcc, s3, v1
	s_or_b64 s[0:1], vcc, s[0:1]
	v_add_co_u32_e32 v14, vcc, s8, v14
	v_addc_co_u32_e32 v15, vcc, v13, v15, vcc
	v_add_u32_e32 v2, s2, v2
	s_waitcnt vmcnt(1)
	v_mul_f64 v[16:17], v[10:11], v[16:17]
	s_waitcnt lgkmcnt(0)
	v_mul_f64 v[16:17], v[6:7], v[16:17]
	s_waitcnt vmcnt(0)
	v_fma_f64 v[16:17], v[4:5], v[18:19], -v[16:17]
	v_mul_f64 v[16:17], v[8:9], v[16:17]
	global_store_dwordx2 v[14:15], v[16:17], off
	s_andn2_b64 exec, exec, s[0:1]
	s_cbranch_execnz .LBB12_19
.LBB12_20:
	s_endpgm
.LBB12_21:                              ;   in Loop: Header=BB12_22 Depth=1
	s_or_b64 exec, exec, s[4:5]
	s_lshr_b32 s4, s22, 1
	s_cmpk_lt_u32 s22, 0x80
	s_mov_b32 s22, s4
	s_waitcnt lgkmcnt(0)
	s_barrier
	s_cbranch_scc1 .LBB12_7
.LBB12_22:                              ; =>This Inner Loop Header: Depth=1
	v_cmp_gt_i32_e32 vcc, s22, v7
	s_and_saveexec_b64 s[4:5], vcc
	s_cbranch_execz .LBB12_21
; %bb.23:                               ;   in Loop: Header=BB12_22 Depth=1
	v_lshl_add_u32 v10, s22, 3, v3
	ds_read_b64 v[8:9], v3
	ds_read_b64 v[10:11], v10
	s_waitcnt lgkmcnt(0)
	v_add_f64 v[8:9], v[8:9], v[10:11]
	ds_write_b64 v3, v[8:9]
	s_branch .LBB12_21
	.section	.rodata,"a",@progbits
	.p2align	6, 0x0
	.amdhsa_kernel _ZN2at6native12_GLOBAL__N_131weight_norm_bwd_last_dim_kernelIddEEvPT_S4_PKS3_S6_S6_PKT0_ii
		.amdhsa_group_segment_fixed_size 0
		.amdhsa_private_segment_fixed_size 0
		.amdhsa_kernarg_size 312
		.amdhsa_user_sgpr_count 6
		.amdhsa_user_sgpr_private_segment_buffer 1
		.amdhsa_user_sgpr_dispatch_ptr 0
		.amdhsa_user_sgpr_queue_ptr 0
		.amdhsa_user_sgpr_kernarg_segment_ptr 1
		.amdhsa_user_sgpr_dispatch_id 0
		.amdhsa_user_sgpr_flat_scratch_init 0
		.amdhsa_user_sgpr_private_segment_size 0
		.amdhsa_uses_dynamic_stack 0
		.amdhsa_system_sgpr_private_segment_wavefront_offset 0
		.amdhsa_system_sgpr_workgroup_id_x 1
		.amdhsa_system_sgpr_workgroup_id_y 0
		.amdhsa_system_sgpr_workgroup_id_z 0
		.amdhsa_system_sgpr_workgroup_info 0
		.amdhsa_system_vgpr_workitem_id 1
		.amdhsa_next_free_vgpr 20
		.amdhsa_next_free_sgpr 23
		.amdhsa_reserve_vcc 1
		.amdhsa_reserve_flat_scratch 0
		.amdhsa_float_round_mode_32 0
		.amdhsa_float_round_mode_16_64 0
		.amdhsa_float_denorm_mode_32 3
		.amdhsa_float_denorm_mode_16_64 3
		.amdhsa_dx10_clamp 1
		.amdhsa_ieee_mode 1
		.amdhsa_fp16_overflow 0
		.amdhsa_exception_fp_ieee_invalid_op 0
		.amdhsa_exception_fp_denorm_src 0
		.amdhsa_exception_fp_ieee_div_zero 0
		.amdhsa_exception_fp_ieee_overflow 0
		.amdhsa_exception_fp_ieee_underflow 0
		.amdhsa_exception_fp_ieee_inexact 0
		.amdhsa_exception_int_div_zero 0
	.end_amdhsa_kernel
	.section	.text._ZN2at6native12_GLOBAL__N_131weight_norm_bwd_last_dim_kernelIddEEvPT_S4_PKS3_S6_S6_PKT0_ii,"axG",@progbits,_ZN2at6native12_GLOBAL__N_131weight_norm_bwd_last_dim_kernelIddEEvPT_S4_PKS3_S6_S6_PKT0_ii,comdat
.Lfunc_end12:
	.size	_ZN2at6native12_GLOBAL__N_131weight_norm_bwd_last_dim_kernelIddEEvPT_S4_PKS3_S6_S6_PKT0_ii, .Lfunc_end12-_ZN2at6native12_GLOBAL__N_131weight_norm_bwd_last_dim_kernelIddEEvPT_S4_PKS3_S6_S6_PKT0_ii
                                        ; -- End function
	.set _ZN2at6native12_GLOBAL__N_131weight_norm_bwd_last_dim_kernelIddEEvPT_S4_PKS3_S6_S6_PKT0_ii.num_vgpr, 20
	.set _ZN2at6native12_GLOBAL__N_131weight_norm_bwd_last_dim_kernelIddEEvPT_S4_PKS3_S6_S6_PKT0_ii.num_agpr, 0
	.set _ZN2at6native12_GLOBAL__N_131weight_norm_bwd_last_dim_kernelIddEEvPT_S4_PKS3_S6_S6_PKT0_ii.numbered_sgpr, 23
	.set _ZN2at6native12_GLOBAL__N_131weight_norm_bwd_last_dim_kernelIddEEvPT_S4_PKS3_S6_S6_PKT0_ii.num_named_barrier, 0
	.set _ZN2at6native12_GLOBAL__N_131weight_norm_bwd_last_dim_kernelIddEEvPT_S4_PKS3_S6_S6_PKT0_ii.private_seg_size, 0
	.set _ZN2at6native12_GLOBAL__N_131weight_norm_bwd_last_dim_kernelIddEEvPT_S4_PKS3_S6_S6_PKT0_ii.uses_vcc, 1
	.set _ZN2at6native12_GLOBAL__N_131weight_norm_bwd_last_dim_kernelIddEEvPT_S4_PKS3_S6_S6_PKT0_ii.uses_flat_scratch, 0
	.set _ZN2at6native12_GLOBAL__N_131weight_norm_bwd_last_dim_kernelIddEEvPT_S4_PKS3_S6_S6_PKT0_ii.has_dyn_sized_stack, 0
	.set _ZN2at6native12_GLOBAL__N_131weight_norm_bwd_last_dim_kernelIddEEvPT_S4_PKS3_S6_S6_PKT0_ii.has_recursion, 0
	.set _ZN2at6native12_GLOBAL__N_131weight_norm_bwd_last_dim_kernelIddEEvPT_S4_PKS3_S6_S6_PKT0_ii.has_indirect_call, 0
	.section	.AMDGPU.csdata,"",@progbits
; Kernel info:
; codeLenInByte = 908
; TotalNumSgprs: 27
; NumVgprs: 20
; ScratchSize: 0
; MemoryBound: 0
; FloatMode: 240
; IeeeMode: 1
; LDSByteSize: 0 bytes/workgroup (compile time only)
; SGPRBlocks: 3
; VGPRBlocks: 4
; NumSGPRsForWavesPerEU: 27
; NumVGPRsForWavesPerEU: 20
; Occupancy: 10
; WaveLimiterHint : 0
; COMPUTE_PGM_RSRC2:SCRATCH_EN: 0
; COMPUTE_PGM_RSRC2:USER_SGPR: 6
; COMPUTE_PGM_RSRC2:TRAP_HANDLER: 0
; COMPUTE_PGM_RSRC2:TGID_X_EN: 1
; COMPUTE_PGM_RSRC2:TGID_Y_EN: 0
; COMPUTE_PGM_RSRC2:TGID_Z_EN: 0
; COMPUTE_PGM_RSRC2:TIDIG_COMP_CNT: 1
	.section	.text._ZN2at6native12_GLOBAL__N_131weight_norm_bwd_last_dim_kernelIffEEvPT_S4_PKS3_S6_S6_PKT0_ii,"axG",@progbits,_ZN2at6native12_GLOBAL__N_131weight_norm_bwd_last_dim_kernelIffEEvPT_S4_PKS3_S6_S6_PKT0_ii,comdat
	.globl	_ZN2at6native12_GLOBAL__N_131weight_norm_bwd_last_dim_kernelIffEEvPT_S4_PKS3_S6_S6_PKT0_ii ; -- Begin function _ZN2at6native12_GLOBAL__N_131weight_norm_bwd_last_dim_kernelIffEEvPT_S4_PKS3_S6_S6_PKT0_ii
	.p2align	8
	.type	_ZN2at6native12_GLOBAL__N_131weight_norm_bwd_last_dim_kernelIffEEvPT_S4_PKS3_S6_S6_PKT0_ii,@function
_ZN2at6native12_GLOBAL__N_131weight_norm_bwd_last_dim_kernelIffEEvPT_S4_PKS3_S6_S6_PKT0_ii: ; @_ZN2at6native12_GLOBAL__N_131weight_norm_bwd_last_dim_kernelIffEEvPT_S4_PKS3_S6_S6_PKT0_ii
; %bb.0:
	s_load_dword s0, s[4:5], 0x44
	s_load_dwordx8 s[8:15], s[4:5], 0x0
	s_load_dwordx4 s[16:19], s[4:5], 0x20
	s_load_dwordx2 s[2:3], s[4:5], 0x30
	s_waitcnt lgkmcnt(0)
	s_and_b32 s21, s0, 0xffff
	s_mul_i32 s6, s6, s21
	v_add_u32_e32 v4, s6, v0
	s_lshr_b32 s20, s0, 16
	v_mad_u64_u32 v[2:3], s[0:1], s2, v1, v[4:5]
	v_cmp_gt_i32_e32 vcc, s2, v4
	v_cmp_gt_i32_e64 s[0:1], s3, v1
	s_and_b64 s[0:1], vcc, s[0:1]
	v_mov_b32_e32 v3, 0
	s_mul_i32 s2, s2, s20
	s_and_saveexec_b64 s[4:5], s[0:1]
	s_cbranch_execz .LBB13_4
; %bb.1:
	v_mov_b32_e32 v3, 0
	s_mov_b64 s[6:7], 0
	v_mov_b32_e32 v7, s13
	v_mov_b32_e32 v8, s15
	;; [unrolled: 1-line block ×4, first 2 shown]
.LBB13_2:                               ; =>This Inner Loop Header: Depth=1
	v_ashrrev_i32_e32 v6, 31, v5
	v_lshlrev_b64 v[10:11], 2, v[5:6]
	v_add_u32_e32 v9, s20, v9
	v_add_co_u32_e32 v12, vcc, s12, v10
	v_addc_co_u32_e32 v13, vcc, v7, v11, vcc
	v_add_co_u32_e32 v10, vcc, s14, v10
	v_addc_co_u32_e32 v11, vcc, v8, v11, vcc
	global_load_dword v6, v[12:13], off
	v_cmp_le_i32_e32 vcc, s3, v9
	global_load_dword v10, v[10:11], off
	s_or_b64 s[6:7], vcc, s[6:7]
	v_add_u32_e32 v5, s2, v5
	s_waitcnt vmcnt(0)
	v_fmac_f32_e32 v3, v6, v10
	s_andn2_b64 exec, exec, s[6:7]
	s_cbranch_execnz .LBB13_2
; %bb.3:
	s_or_b64 exec, exec, s[6:7]
.LBB13_4:
	s_or_b64 exec, exec, s[4:5]
	s_mul_i32 s4, s20, s21
	v_mad_u32_u24 v6, v1, s21, v0
	s_cmp_gt_i32 s4, 63
	s_cselect_b64 s[6:7], -1, 0
	s_cmp_lt_i32 s4, 64
	v_lshl_add_u32 v5, v6, 2, 0
	s_cbranch_scc1 .LBB13_6
; %bb.5:
	ds_write_b32 v5, v3
	s_waitcnt lgkmcnt(0)
	s_barrier
.LBB13_6:
	s_ashr_i32 s22, s4, 1
	s_cmp_lt_i32 s22, 64
	s_cbranch_scc0 .LBB13_22
.LBB13_7:
	v_cmp_gt_u32_e32 vcc, 32, v6
	s_and_saveexec_b64 s[4:5], vcc
	s_cbranch_execz .LBB13_15
; %bb.8:
	s_andn2_b64 vcc, exec, s[6:7]
	s_cbranch_vccnz .LBB13_10
; %bb.9:
	ds_read2_b32 v[7:8], v5 offset1:32
	s_waitcnt lgkmcnt(0)
	v_add_f32_e32 v3, v7, v8
.LBB13_10:
	s_cmp_gt_u32 s21, 16
	s_mov_b32 s6, 16
	s_cbranch_scc1 .LBB13_13
; %bb.11:
	v_mbcnt_lo_u32_b32 v7, -1, 0
	v_mbcnt_hi_u32_b32 v7, -1, v7
	v_and_b32_e32 v8, 63, v7
	v_sub_u32_e32 v8, 64, v8
.LBB13_12:                              ; =>This Inner Loop Header: Depth=1
	v_mov_b32_e32 v9, s6
	v_cmp_lt_u32_e32 vcc, s6, v8
	v_cndmask_b32_e32 v9, 0, v9, vcc
	v_add_lshl_u32 v9, v9, v7, 2
	ds_bpermute_b32 v9, v9, v3
	s_lshr_b32 s6, s6, 1
	s_cmp_lt_u32 s6, s21
	s_waitcnt lgkmcnt(0)
	v_add_f32_e32 v3, v3, v9
	s_cbranch_scc0 .LBB13_12
.LBB13_13:
	v_cmp_gt_u32_e32 vcc, s21, v6
	s_and_b64 exec, exec, vcc
; %bb.14:
	ds_write_b32 v5, v3
.LBB13_15:
	s_or_b64 exec, exec, s[4:5]
	v_ashrrev_i32_e32 v5, 31, v4
	v_lshlrev_b64 v[3:4], 2, v[4:5]
	v_mov_b32_e32 v6, s19
	v_add_co_u32_e32 v5, vcc, s18, v3
	v_addc_co_u32_e32 v6, vcc, v6, v4, vcc
	s_waitcnt lgkmcnt(0)
	s_barrier
	global_load_dword v5, v[5:6], off
	v_lshl_add_u32 v0, v0, 2, 0
	ds_read_b32 v0, v0
	s_waitcnt vmcnt(0)
	v_div_scale_f32 v6, s[4:5], v5, v5, 1.0
	v_div_scale_f32 v7, vcc, 1.0, v5, 1.0
	v_rcp_f32_e32 v8, v6
	v_fma_f32 v9, -v6, v8, 1.0
	v_fmac_f32_e32 v8, v9, v8
	v_mul_f32_e32 v9, v7, v8
	v_fma_f32 v10, -v6, v9, v7
	v_fmac_f32_e32 v9, v10, v8
	v_fma_f32 v6, -v6, v9, v7
	v_div_fmas_f32 v6, v6, v8, v9
	v_cmp_eq_u32_e32 vcc, 0, v1
	v_div_fixup_f32 v5, v6, v5, 1.0
	s_and_saveexec_b64 s[4:5], vcc
	s_cbranch_execz .LBB13_17
; %bb.16:
	v_mov_b32_e32 v7, s11
	v_add_co_u32_e32 v6, vcc, s10, v3
	v_addc_co_u32_e32 v7, vcc, v7, v4, vcc
	s_waitcnt lgkmcnt(0)
	v_mul_f32_e32 v8, v0, v5
	global_store_dword v[6:7], v8, off
.LBB13_17:
	s_or_b64 exec, exec, s[4:5]
	s_and_saveexec_b64 s[4:5], s[0:1]
	s_cbranch_execz .LBB13_20
; %bb.18:
	v_mov_b32_e32 v6, s17
	v_add_co_u32_e32 v3, vcc, s16, v3
	v_addc_co_u32_e32 v4, vcc, v6, v4, vcc
	global_load_dword v4, v[3:4], off
	v_mul_f32_e32 v3, v5, v5
	v_mul_f32_e32 v6, v5, v3
	s_mov_b64 s[0:1], 0
	v_mov_b32_e32 v7, s13
	v_mov_b32_e32 v8, s15
	;; [unrolled: 1-line block ×3, first 2 shown]
.LBB13_19:                              ; =>This Inner Loop Header: Depth=1
	v_ashrrev_i32_e32 v3, 31, v2
	v_lshlrev_b64 v[10:11], 2, v[2:3]
	v_add_u32_e32 v1, s20, v1
	v_add_co_u32_e32 v12, vcc, s14, v10
	v_addc_co_u32_e32 v13, vcc, v8, v11, vcc
	global_load_dword v3, v[12:13], off
	v_add_co_u32_e32 v12, vcc, s12, v10
	v_addc_co_u32_e32 v13, vcc, v7, v11, vcc
	global_load_dword v12, v[12:13], off
	v_cmp_le_i32_e32 vcc, s3, v1
	s_or_b64 s[0:1], vcc, s[0:1]
	v_add_co_u32_e32 v10, vcc, s8, v10
	v_addc_co_u32_e32 v11, vcc, v9, v11, vcc
	v_add_u32_e32 v2, s2, v2
	s_waitcnt vmcnt(1)
	v_mul_f32_e32 v3, v6, v3
	s_waitcnt lgkmcnt(0)
	v_mul_f32_e32 v3, v0, v3
	s_waitcnt vmcnt(0)
	v_fma_f32 v3, v5, v12, -v3
	v_mul_f32_e32 v3, v4, v3
	global_store_dword v[10:11], v3, off
	s_andn2_b64 exec, exec, s[0:1]
	s_cbranch_execnz .LBB13_19
.LBB13_20:
	s_endpgm
.LBB13_21:                              ;   in Loop: Header=BB13_22 Depth=1
	s_or_b64 exec, exec, s[4:5]
	s_lshr_b32 s4, s22, 1
	s_cmpk_lt_u32 s22, 0x80
	s_mov_b32 s22, s4
	s_waitcnt lgkmcnt(0)
	s_barrier
	s_cbranch_scc1 .LBB13_7
.LBB13_22:                              ; =>This Inner Loop Header: Depth=1
	v_cmp_gt_i32_e32 vcc, s22, v6
	s_and_saveexec_b64 s[4:5], vcc
	s_cbranch_execz .LBB13_21
; %bb.23:                               ;   in Loop: Header=BB13_22 Depth=1
	v_lshl_add_u32 v7, s22, 2, v5
	ds_read_b32 v8, v5
	ds_read_b32 v7, v7
	s_waitcnt lgkmcnt(0)
	v_add_f32_e32 v7, v8, v7
	ds_write_b32 v5, v7
	s_branch .LBB13_21
	.section	.rodata,"a",@progbits
	.p2align	6, 0x0
	.amdhsa_kernel _ZN2at6native12_GLOBAL__N_131weight_norm_bwd_last_dim_kernelIffEEvPT_S4_PKS3_S6_S6_PKT0_ii
		.amdhsa_group_segment_fixed_size 0
		.amdhsa_private_segment_fixed_size 0
		.amdhsa_kernarg_size 312
		.amdhsa_user_sgpr_count 6
		.amdhsa_user_sgpr_private_segment_buffer 1
		.amdhsa_user_sgpr_dispatch_ptr 0
		.amdhsa_user_sgpr_queue_ptr 0
		.amdhsa_user_sgpr_kernarg_segment_ptr 1
		.amdhsa_user_sgpr_dispatch_id 0
		.amdhsa_user_sgpr_flat_scratch_init 0
		.amdhsa_user_sgpr_private_segment_size 0
		.amdhsa_uses_dynamic_stack 0
		.amdhsa_system_sgpr_private_segment_wavefront_offset 0
		.amdhsa_system_sgpr_workgroup_id_x 1
		.amdhsa_system_sgpr_workgroup_id_y 0
		.amdhsa_system_sgpr_workgroup_id_z 0
		.amdhsa_system_sgpr_workgroup_info 0
		.amdhsa_system_vgpr_workitem_id 1
		.amdhsa_next_free_vgpr 14
		.amdhsa_next_free_sgpr 23
		.amdhsa_reserve_vcc 1
		.amdhsa_reserve_flat_scratch 0
		.amdhsa_float_round_mode_32 0
		.amdhsa_float_round_mode_16_64 0
		.amdhsa_float_denorm_mode_32 3
		.amdhsa_float_denorm_mode_16_64 3
		.amdhsa_dx10_clamp 1
		.amdhsa_ieee_mode 1
		.amdhsa_fp16_overflow 0
		.amdhsa_exception_fp_ieee_invalid_op 0
		.amdhsa_exception_fp_denorm_src 0
		.amdhsa_exception_fp_ieee_div_zero 0
		.amdhsa_exception_fp_ieee_overflow 0
		.amdhsa_exception_fp_ieee_underflow 0
		.amdhsa_exception_fp_ieee_inexact 0
		.amdhsa_exception_int_div_zero 0
	.end_amdhsa_kernel
	.section	.text._ZN2at6native12_GLOBAL__N_131weight_norm_bwd_last_dim_kernelIffEEvPT_S4_PKS3_S6_S6_PKT0_ii,"axG",@progbits,_ZN2at6native12_GLOBAL__N_131weight_norm_bwd_last_dim_kernelIffEEvPT_S4_PKS3_S6_S6_PKT0_ii,comdat
.Lfunc_end13:
	.size	_ZN2at6native12_GLOBAL__N_131weight_norm_bwd_last_dim_kernelIffEEvPT_S4_PKS3_S6_S6_PKT0_ii, .Lfunc_end13-_ZN2at6native12_GLOBAL__N_131weight_norm_bwd_last_dim_kernelIffEEvPT_S4_PKS3_S6_S6_PKT0_ii
                                        ; -- End function
	.set _ZN2at6native12_GLOBAL__N_131weight_norm_bwd_last_dim_kernelIffEEvPT_S4_PKS3_S6_S6_PKT0_ii.num_vgpr, 14
	.set _ZN2at6native12_GLOBAL__N_131weight_norm_bwd_last_dim_kernelIffEEvPT_S4_PKS3_S6_S6_PKT0_ii.num_agpr, 0
	.set _ZN2at6native12_GLOBAL__N_131weight_norm_bwd_last_dim_kernelIffEEvPT_S4_PKS3_S6_S6_PKT0_ii.numbered_sgpr, 23
	.set _ZN2at6native12_GLOBAL__N_131weight_norm_bwd_last_dim_kernelIffEEvPT_S4_PKS3_S6_S6_PKT0_ii.num_named_barrier, 0
	.set _ZN2at6native12_GLOBAL__N_131weight_norm_bwd_last_dim_kernelIffEEvPT_S4_PKS3_S6_S6_PKT0_ii.private_seg_size, 0
	.set _ZN2at6native12_GLOBAL__N_131weight_norm_bwd_last_dim_kernelIffEEvPT_S4_PKS3_S6_S6_PKT0_ii.uses_vcc, 1
	.set _ZN2at6native12_GLOBAL__N_131weight_norm_bwd_last_dim_kernelIffEEvPT_S4_PKS3_S6_S6_PKT0_ii.uses_flat_scratch, 0
	.set _ZN2at6native12_GLOBAL__N_131weight_norm_bwd_last_dim_kernelIffEEvPT_S4_PKS3_S6_S6_PKT0_ii.has_dyn_sized_stack, 0
	.set _ZN2at6native12_GLOBAL__N_131weight_norm_bwd_last_dim_kernelIffEEvPT_S4_PKS3_S6_S6_PKT0_ii.has_recursion, 0
	.set _ZN2at6native12_GLOBAL__N_131weight_norm_bwd_last_dim_kernelIffEEvPT_S4_PKS3_S6_S6_PKT0_ii.has_indirect_call, 0
	.section	.AMDGPU.csdata,"",@progbits
; Kernel info:
; codeLenInByte = 840
; TotalNumSgprs: 27
; NumVgprs: 14
; ScratchSize: 0
; MemoryBound: 0
; FloatMode: 240
; IeeeMode: 1
; LDSByteSize: 0 bytes/workgroup (compile time only)
; SGPRBlocks: 3
; VGPRBlocks: 3
; NumSGPRsForWavesPerEU: 27
; NumVGPRsForWavesPerEU: 14
; Occupancy: 10
; WaveLimiterHint : 0
; COMPUTE_PGM_RSRC2:SCRATCH_EN: 0
; COMPUTE_PGM_RSRC2:USER_SGPR: 6
; COMPUTE_PGM_RSRC2:TRAP_HANDLER: 0
; COMPUTE_PGM_RSRC2:TGID_X_EN: 1
; COMPUTE_PGM_RSRC2:TGID_Y_EN: 0
; COMPUTE_PGM_RSRC2:TGID_Z_EN: 0
; COMPUTE_PGM_RSRC2:TIDIG_COMP_CNT: 1
	.section	.text._ZN2at6native12_GLOBAL__N_131weight_norm_bwd_last_dim_kernelIN3c108BFloat16EfEEvPT_S6_PKS5_S8_S8_PKT0_ii,"axG",@progbits,_ZN2at6native12_GLOBAL__N_131weight_norm_bwd_last_dim_kernelIN3c108BFloat16EfEEvPT_S6_PKS5_S8_S8_PKT0_ii,comdat
	.globl	_ZN2at6native12_GLOBAL__N_131weight_norm_bwd_last_dim_kernelIN3c108BFloat16EfEEvPT_S6_PKS5_S8_S8_PKT0_ii ; -- Begin function _ZN2at6native12_GLOBAL__N_131weight_norm_bwd_last_dim_kernelIN3c108BFloat16EfEEvPT_S6_PKS5_S8_S8_PKT0_ii
	.p2align	8
	.type	_ZN2at6native12_GLOBAL__N_131weight_norm_bwd_last_dim_kernelIN3c108BFloat16EfEEvPT_S6_PKS5_S8_S8_PKT0_ii,@function
_ZN2at6native12_GLOBAL__N_131weight_norm_bwd_last_dim_kernelIN3c108BFloat16EfEEvPT_S6_PKS5_S8_S8_PKT0_ii: ; @_ZN2at6native12_GLOBAL__N_131weight_norm_bwd_last_dim_kernelIN3c108BFloat16EfEEvPT_S6_PKS5_S8_S8_PKT0_ii
; %bb.0:
	s_load_dword s0, s[4:5], 0x44
	s_load_dwordx8 s[8:15], s[4:5], 0x0
	s_load_dwordx4 s[16:19], s[4:5], 0x20
	s_load_dwordx2 s[2:3], s[4:5], 0x30
	s_waitcnt lgkmcnt(0)
	s_and_b32 s21, s0, 0xffff
	s_mul_i32 s6, s6, s21
	v_add_u32_e32 v4, s6, v0
	s_lshr_b32 s20, s0, 16
	v_mad_u64_u32 v[2:3], s[0:1], s2, v1, v[4:5]
	v_cmp_gt_i32_e32 vcc, s2, v4
	v_cmp_gt_i32_e64 s[0:1], s3, v1
	s_and_b64 s[0:1], vcc, s[0:1]
	v_mov_b32_e32 v3, 0
	s_mul_i32 s2, s2, s20
	s_and_saveexec_b64 s[4:5], s[0:1]
	s_cbranch_execz .LBB14_4
; %bb.1:
	v_mov_b32_e32 v3, 0
	s_mov_b64 s[6:7], 0
	v_mov_b32_e32 v7, s13
	v_mov_b32_e32 v8, s15
	;; [unrolled: 1-line block ×4, first 2 shown]
.LBB14_2:                               ; =>This Inner Loop Header: Depth=1
	v_ashrrev_i32_e32 v6, 31, v5
	v_lshlrev_b64 v[10:11], 1, v[5:6]
	v_add_u32_e32 v9, s20, v9
	v_add_co_u32_e32 v12, vcc, s12, v10
	v_addc_co_u32_e32 v13, vcc, v7, v11, vcc
	v_add_co_u32_e32 v10, vcc, s14, v10
	v_addc_co_u32_e32 v11, vcc, v8, v11, vcc
	global_load_ushort v6, v[10:11], off
	global_load_ushort v14, v[12:13], off
	v_cmp_le_i32_e32 vcc, s3, v9
	s_or_b64 s[6:7], vcc, s[6:7]
	v_add_u32_e32 v5, s2, v5
	s_waitcnt vmcnt(1)
	v_lshlrev_b32_e32 v6, 16, v6
	s_waitcnt vmcnt(0)
	v_lshlrev_b32_e32 v10, 16, v14
	v_fmac_f32_e32 v3, v10, v6
	s_andn2_b64 exec, exec, s[6:7]
	s_cbranch_execnz .LBB14_2
; %bb.3:
	s_or_b64 exec, exec, s[6:7]
.LBB14_4:
	s_or_b64 exec, exec, s[4:5]
	s_mul_i32 s4, s20, s21
	v_mad_u32_u24 v6, v1, s21, v0
	s_cmp_gt_i32 s4, 63
	s_cselect_b64 s[6:7], -1, 0
	s_cmp_lt_i32 s4, 64
	v_lshl_add_u32 v5, v6, 2, 0
	s_cbranch_scc1 .LBB14_6
; %bb.5:
	ds_write_b32 v5, v3
	s_waitcnt lgkmcnt(0)
	s_barrier
.LBB14_6:
	s_ashr_i32 s22, s4, 1
	s_cmp_lt_i32 s22, 64
	s_cbranch_scc0 .LBB14_22
.LBB14_7:
	v_cmp_gt_u32_e32 vcc, 32, v6
	s_and_saveexec_b64 s[4:5], vcc
	s_cbranch_execz .LBB14_15
; %bb.8:
	s_andn2_b64 vcc, exec, s[6:7]
	s_cbranch_vccnz .LBB14_10
; %bb.9:
	ds_read2_b32 v[7:8], v5 offset1:32
	s_waitcnt lgkmcnt(0)
	v_add_f32_e32 v3, v7, v8
.LBB14_10:
	s_cmp_gt_u32 s21, 16
	s_mov_b32 s6, 16
	s_cbranch_scc1 .LBB14_13
; %bb.11:
	v_mbcnt_lo_u32_b32 v7, -1, 0
	v_mbcnt_hi_u32_b32 v7, -1, v7
	v_and_b32_e32 v8, 63, v7
	v_sub_u32_e32 v8, 64, v8
.LBB14_12:                              ; =>This Inner Loop Header: Depth=1
	v_mov_b32_e32 v9, s6
	v_cmp_lt_u32_e32 vcc, s6, v8
	v_cndmask_b32_e32 v9, 0, v9, vcc
	v_add_lshl_u32 v9, v9, v7, 2
	ds_bpermute_b32 v9, v9, v3
	s_lshr_b32 s6, s6, 1
	s_cmp_lt_u32 s6, s21
	s_waitcnt lgkmcnt(0)
	v_add_f32_e32 v3, v3, v9
	s_cbranch_scc0 .LBB14_12
.LBB14_13:
	v_cmp_gt_u32_e32 vcc, s21, v6
	s_and_b64 exec, exec, vcc
; %bb.14:
	ds_write_b32 v5, v3
.LBB14_15:
	s_or_b64 exec, exec, s[4:5]
	v_ashrrev_i32_e32 v5, 31, v4
	v_lshlrev_b64 v[6:7], 2, v[4:5]
	v_mov_b32_e32 v3, s19
	v_add_co_u32_e32 v6, vcc, s18, v6
	v_addc_co_u32_e32 v7, vcc, v3, v7, vcc
	s_waitcnt lgkmcnt(0)
	s_barrier
	global_load_dword v6, v[6:7], off
	v_lshl_add_u32 v0, v0, 2, 0
	ds_read_b32 v0, v0
	s_waitcnt vmcnt(0)
	v_div_scale_f32 v3, s[4:5], v6, v6, 1.0
	v_div_scale_f32 v7, vcc, 1.0, v6, 1.0
	v_rcp_f32_e32 v8, v3
	v_fma_f32 v9, -v3, v8, 1.0
	v_fmac_f32_e32 v8, v9, v8
	v_mul_f32_e32 v9, v7, v8
	v_fma_f32 v10, -v3, v9, v7
	v_fmac_f32_e32 v9, v10, v8
	v_fma_f32 v3, -v3, v9, v7
	v_div_fmas_f32 v7, v3, v8, v9
	v_lshlrev_b64 v[3:4], 1, v[4:5]
	v_cmp_eq_u32_e32 vcc, 0, v1
	v_div_fixup_f32 v5, v7, v6, 1.0
	s_and_saveexec_b64 s[4:5], vcc
	s_cbranch_execz .LBB14_17
; %bb.16:
	s_waitcnt lgkmcnt(0)
	v_mul_f32_e32 v6, v0, v5
	v_bfe_u32 v7, v6, 16, 1
	s_movk_i32 s6, 0x7fff
	v_add3_u32 v7, v6, v7, s6
	v_cmp_o_f32_e32 vcc, v6, v6
	v_mov_b32_e32 v6, 0x7fc0
	v_cndmask_b32_sdwa v8, v6, v7, vcc dst_sel:DWORD dst_unused:UNUSED_PAD src0_sel:DWORD src1_sel:WORD_1
	v_mov_b32_e32 v7, s11
	v_add_co_u32_e32 v6, vcc, s10, v3
	v_addc_co_u32_e32 v7, vcc, v7, v4, vcc
	global_store_short v[6:7], v8, off
.LBB14_17:
	s_or_b64 exec, exec, s[4:5]
	s_and_saveexec_b64 s[4:5], s[0:1]
	s_cbranch_execz .LBB14_20
; %bb.18:
	v_mov_b32_e32 v6, s17
	v_add_co_u32_e32 v3, vcc, s16, v3
	v_addc_co_u32_e32 v4, vcc, v6, v4, vcc
	global_load_ushort v3, v[3:4], off
	v_mul_f32_e32 v8, v5, v5
	s_mov_b64 s[0:1], 0
	v_mov_b32_e32 v4, s13
	v_mov_b32_e32 v6, s15
	s_movk_i32 s4, 0x7fff
	v_mov_b32_e32 v7, 0x7fc0
	v_mul_f32_e32 v8, v5, v8
	v_mov_b32_e32 v10, s9
	s_waitcnt vmcnt(0)
	v_lshlrev_b32_e32 v9, 16, v3
.LBB14_19:                              ; =>This Inner Loop Header: Depth=1
	v_ashrrev_i32_e32 v3, 31, v2
	v_lshlrev_b64 v[11:12], 1, v[2:3]
	v_add_u32_e32 v1, s20, v1
	v_add_co_u32_e32 v13, vcc, s12, v11
	v_addc_co_u32_e32 v14, vcc, v4, v12, vcc
	v_add_co_u32_e32 v15, vcc, s14, v11
	v_addc_co_u32_e32 v16, vcc, v6, v12, vcc
	global_load_ushort v3, v[15:16], off
	global_load_ushort v17, v[13:14], off
	v_cmp_le_i32_e32 vcc, s3, v1
	s_or_b64 s[0:1], vcc, s[0:1]
	v_add_co_u32_e32 v11, vcc, s8, v11
	v_addc_co_u32_e32 v12, vcc, v10, v12, vcc
	v_add_u32_e32 v2, s2, v2
	s_waitcnt vmcnt(1)
	v_lshlrev_b32_e32 v3, 16, v3
	s_waitcnt vmcnt(0)
	v_lshlrev_b32_e32 v13, 16, v17
	v_mul_f32_e32 v13, v5, v13
	v_mul_f32_e32 v3, v8, v3
	s_waitcnt lgkmcnt(0)
	v_fma_f32 v3, -v0, v3, v13
	v_mul_f32_e32 v3, v3, v9
	v_bfe_u32 v13, v3, 16, 1
	v_add3_u32 v13, v3, v13, s4
	v_lshrrev_b32_e32 v13, 16, v13
	v_cmp_o_f32_e32 vcc, v3, v3
	v_cndmask_b32_e32 v3, v7, v13, vcc
	global_store_short v[11:12], v3, off
	s_andn2_b64 exec, exec, s[0:1]
	s_cbranch_execnz .LBB14_19
.LBB14_20:
	s_endpgm
.LBB14_21:                              ;   in Loop: Header=BB14_22 Depth=1
	s_or_b64 exec, exec, s[4:5]
	s_lshr_b32 s4, s22, 1
	s_cmpk_lt_u32 s22, 0x80
	s_mov_b32 s22, s4
	s_waitcnt lgkmcnt(0)
	s_barrier
	s_cbranch_scc1 .LBB14_7
.LBB14_22:                              ; =>This Inner Loop Header: Depth=1
	v_cmp_gt_i32_e32 vcc, s22, v6
	s_and_saveexec_b64 s[4:5], vcc
	s_cbranch_execz .LBB14_21
; %bb.23:                               ;   in Loop: Header=BB14_22 Depth=1
	v_lshl_add_u32 v7, s22, 2, v5
	ds_read_b32 v8, v5
	ds_read_b32 v7, v7
	s_waitcnt lgkmcnt(0)
	v_add_f32_e32 v7, v8, v7
	ds_write_b32 v5, v7
	s_branch .LBB14_21
	.section	.rodata,"a",@progbits
	.p2align	6, 0x0
	.amdhsa_kernel _ZN2at6native12_GLOBAL__N_131weight_norm_bwd_last_dim_kernelIN3c108BFloat16EfEEvPT_S6_PKS5_S8_S8_PKT0_ii
		.amdhsa_group_segment_fixed_size 0
		.amdhsa_private_segment_fixed_size 0
		.amdhsa_kernarg_size 312
		.amdhsa_user_sgpr_count 6
		.amdhsa_user_sgpr_private_segment_buffer 1
		.amdhsa_user_sgpr_dispatch_ptr 0
		.amdhsa_user_sgpr_queue_ptr 0
		.amdhsa_user_sgpr_kernarg_segment_ptr 1
		.amdhsa_user_sgpr_dispatch_id 0
		.amdhsa_user_sgpr_flat_scratch_init 0
		.amdhsa_user_sgpr_private_segment_size 0
		.amdhsa_uses_dynamic_stack 0
		.amdhsa_system_sgpr_private_segment_wavefront_offset 0
		.amdhsa_system_sgpr_workgroup_id_x 1
		.amdhsa_system_sgpr_workgroup_id_y 0
		.amdhsa_system_sgpr_workgroup_id_z 0
		.amdhsa_system_sgpr_workgroup_info 0
		.amdhsa_system_vgpr_workitem_id 1
		.amdhsa_next_free_vgpr 18
		.amdhsa_next_free_sgpr 23
		.amdhsa_reserve_vcc 1
		.amdhsa_reserve_flat_scratch 0
		.amdhsa_float_round_mode_32 0
		.amdhsa_float_round_mode_16_64 0
		.amdhsa_float_denorm_mode_32 3
		.amdhsa_float_denorm_mode_16_64 3
		.amdhsa_dx10_clamp 1
		.amdhsa_ieee_mode 1
		.amdhsa_fp16_overflow 0
		.amdhsa_exception_fp_ieee_invalid_op 0
		.amdhsa_exception_fp_denorm_src 0
		.amdhsa_exception_fp_ieee_div_zero 0
		.amdhsa_exception_fp_ieee_overflow 0
		.amdhsa_exception_fp_ieee_underflow 0
		.amdhsa_exception_fp_ieee_inexact 0
		.amdhsa_exception_int_div_zero 0
	.end_amdhsa_kernel
	.section	.text._ZN2at6native12_GLOBAL__N_131weight_norm_bwd_last_dim_kernelIN3c108BFloat16EfEEvPT_S6_PKS5_S8_S8_PKT0_ii,"axG",@progbits,_ZN2at6native12_GLOBAL__N_131weight_norm_bwd_last_dim_kernelIN3c108BFloat16EfEEvPT_S6_PKS5_S8_S8_PKT0_ii,comdat
.Lfunc_end14:
	.size	_ZN2at6native12_GLOBAL__N_131weight_norm_bwd_last_dim_kernelIN3c108BFloat16EfEEvPT_S6_PKS5_S8_S8_PKT0_ii, .Lfunc_end14-_ZN2at6native12_GLOBAL__N_131weight_norm_bwd_last_dim_kernelIN3c108BFloat16EfEEvPT_S6_PKS5_S8_S8_PKT0_ii
                                        ; -- End function
	.set _ZN2at6native12_GLOBAL__N_131weight_norm_bwd_last_dim_kernelIN3c108BFloat16EfEEvPT_S6_PKS5_S8_S8_PKT0_ii.num_vgpr, 18
	.set _ZN2at6native12_GLOBAL__N_131weight_norm_bwd_last_dim_kernelIN3c108BFloat16EfEEvPT_S6_PKS5_S8_S8_PKT0_ii.num_agpr, 0
	.set _ZN2at6native12_GLOBAL__N_131weight_norm_bwd_last_dim_kernelIN3c108BFloat16EfEEvPT_S6_PKS5_S8_S8_PKT0_ii.numbered_sgpr, 23
	.set _ZN2at6native12_GLOBAL__N_131weight_norm_bwd_last_dim_kernelIN3c108BFloat16EfEEvPT_S6_PKS5_S8_S8_PKT0_ii.num_named_barrier, 0
	.set _ZN2at6native12_GLOBAL__N_131weight_norm_bwd_last_dim_kernelIN3c108BFloat16EfEEvPT_S6_PKS5_S8_S8_PKT0_ii.private_seg_size, 0
	.set _ZN2at6native12_GLOBAL__N_131weight_norm_bwd_last_dim_kernelIN3c108BFloat16EfEEvPT_S6_PKS5_S8_S8_PKT0_ii.uses_vcc, 1
	.set _ZN2at6native12_GLOBAL__N_131weight_norm_bwd_last_dim_kernelIN3c108BFloat16EfEEvPT_S6_PKS5_S8_S8_PKT0_ii.uses_flat_scratch, 0
	.set _ZN2at6native12_GLOBAL__N_131weight_norm_bwd_last_dim_kernelIN3c108BFloat16EfEEvPT_S6_PKS5_S8_S8_PKT0_ii.has_dyn_sized_stack, 0
	.set _ZN2at6native12_GLOBAL__N_131weight_norm_bwd_last_dim_kernelIN3c108BFloat16EfEEvPT_S6_PKS5_S8_S8_PKT0_ii.has_recursion, 0
	.set _ZN2at6native12_GLOBAL__N_131weight_norm_bwd_last_dim_kernelIN3c108BFloat16EfEEvPT_S6_PKS5_S8_S8_PKT0_ii.has_indirect_call, 0
	.section	.AMDGPU.csdata,"",@progbits
; Kernel info:
; codeLenInByte = 956
; TotalNumSgprs: 27
; NumVgprs: 18
; ScratchSize: 0
; MemoryBound: 0
; FloatMode: 240
; IeeeMode: 1
; LDSByteSize: 0 bytes/workgroup (compile time only)
; SGPRBlocks: 3
; VGPRBlocks: 4
; NumSGPRsForWavesPerEU: 27
; NumVGPRsForWavesPerEU: 18
; Occupancy: 10
; WaveLimiterHint : 0
; COMPUTE_PGM_RSRC2:SCRATCH_EN: 0
; COMPUTE_PGM_RSRC2:USER_SGPR: 6
; COMPUTE_PGM_RSRC2:TRAP_HANDLER: 0
; COMPUTE_PGM_RSRC2:TGID_X_EN: 1
; COMPUTE_PGM_RSRC2:TGID_Y_EN: 0
; COMPUTE_PGM_RSRC2:TGID_Z_EN: 0
; COMPUTE_PGM_RSRC2:TIDIG_COMP_CNT: 1
	.section	.text._ZN2at6native12_GLOBAL__N_131weight_norm_bwd_last_dim_kernelIN3c104HalfEfEEvPT_S6_PKS5_S8_S8_PKT0_ii,"axG",@progbits,_ZN2at6native12_GLOBAL__N_131weight_norm_bwd_last_dim_kernelIN3c104HalfEfEEvPT_S6_PKS5_S8_S8_PKT0_ii,comdat
	.globl	_ZN2at6native12_GLOBAL__N_131weight_norm_bwd_last_dim_kernelIN3c104HalfEfEEvPT_S6_PKS5_S8_S8_PKT0_ii ; -- Begin function _ZN2at6native12_GLOBAL__N_131weight_norm_bwd_last_dim_kernelIN3c104HalfEfEEvPT_S6_PKS5_S8_S8_PKT0_ii
	.p2align	8
	.type	_ZN2at6native12_GLOBAL__N_131weight_norm_bwd_last_dim_kernelIN3c104HalfEfEEvPT_S6_PKS5_S8_S8_PKT0_ii,@function
_ZN2at6native12_GLOBAL__N_131weight_norm_bwd_last_dim_kernelIN3c104HalfEfEEvPT_S6_PKS5_S8_S8_PKT0_ii: ; @_ZN2at6native12_GLOBAL__N_131weight_norm_bwd_last_dim_kernelIN3c104HalfEfEEvPT_S6_PKS5_S8_S8_PKT0_ii
; %bb.0:
	s_load_dword s0, s[4:5], 0x44
	s_load_dwordx8 s[8:15], s[4:5], 0x0
	s_load_dwordx4 s[16:19], s[4:5], 0x20
	s_load_dwordx2 s[2:3], s[4:5], 0x30
	s_waitcnt lgkmcnt(0)
	s_and_b32 s21, s0, 0xffff
	s_mul_i32 s6, s6, s21
	v_add_u32_e32 v4, s6, v0
	s_lshr_b32 s20, s0, 16
	v_mad_u64_u32 v[2:3], s[0:1], s2, v1, v[4:5]
	v_cmp_gt_i32_e32 vcc, s2, v4
	v_cmp_gt_i32_e64 s[0:1], s3, v1
	s_and_b64 s[0:1], vcc, s[0:1]
	v_mov_b32_e32 v3, 0
	s_mul_i32 s2, s2, s20
	s_and_saveexec_b64 s[4:5], s[0:1]
	s_cbranch_execz .LBB15_4
; %bb.1:
	v_mov_b32_e32 v3, 0
	s_mov_b64 s[6:7], 0
	v_mov_b32_e32 v7, s13
	v_mov_b32_e32 v8, s15
	;; [unrolled: 1-line block ×4, first 2 shown]
.LBB15_2:                               ; =>This Inner Loop Header: Depth=1
	v_ashrrev_i32_e32 v6, 31, v5
	v_lshlrev_b64 v[10:11], 1, v[5:6]
	v_add_u32_e32 v9, s20, v9
	v_add_co_u32_e32 v12, vcc, s12, v10
	v_addc_co_u32_e32 v13, vcc, v7, v11, vcc
	v_add_co_u32_e32 v10, vcc, s14, v10
	v_addc_co_u32_e32 v11, vcc, v8, v11, vcc
	global_load_ushort v6, v[12:13], off
	v_cmp_le_i32_e32 vcc, s3, v9
	global_load_ushort v10, v[10:11], off
	s_or_b64 s[6:7], vcc, s[6:7]
	v_add_u32_e32 v5, s2, v5
	s_waitcnt vmcnt(0)
	v_fma_mix_f32 v3, v6, v10, v3 op_sel_hi:[1,1,0]
	s_andn2_b64 exec, exec, s[6:7]
	s_cbranch_execnz .LBB15_2
; %bb.3:
	s_or_b64 exec, exec, s[6:7]
.LBB15_4:
	s_or_b64 exec, exec, s[4:5]
	s_mul_i32 s4, s20, s21
	v_mad_u32_u24 v6, v1, s21, v0
	s_cmp_gt_i32 s4, 63
	s_cselect_b64 s[6:7], -1, 0
	s_cmp_lt_i32 s4, 64
	v_lshl_add_u32 v5, v6, 2, 0
	s_cbranch_scc1 .LBB15_6
; %bb.5:
	ds_write_b32 v5, v3
	s_waitcnt lgkmcnt(0)
	s_barrier
.LBB15_6:
	s_ashr_i32 s22, s4, 1
	s_cmp_lt_i32 s22, 64
	s_cbranch_scc0 .LBB15_22
.LBB15_7:
	v_cmp_gt_u32_e32 vcc, 32, v6
	s_and_saveexec_b64 s[4:5], vcc
	s_cbranch_execz .LBB15_15
; %bb.8:
	s_andn2_b64 vcc, exec, s[6:7]
	s_cbranch_vccnz .LBB15_10
; %bb.9:
	ds_read2_b32 v[7:8], v5 offset1:32
	s_waitcnt lgkmcnt(0)
	v_add_f32_e32 v3, v7, v8
.LBB15_10:
	s_cmp_gt_u32 s21, 16
	s_mov_b32 s6, 16
	s_cbranch_scc1 .LBB15_13
; %bb.11:
	v_mbcnt_lo_u32_b32 v7, -1, 0
	v_mbcnt_hi_u32_b32 v7, -1, v7
	v_and_b32_e32 v8, 63, v7
	v_sub_u32_e32 v8, 64, v8
.LBB15_12:                              ; =>This Inner Loop Header: Depth=1
	v_mov_b32_e32 v9, s6
	v_cmp_lt_u32_e32 vcc, s6, v8
	v_cndmask_b32_e32 v9, 0, v9, vcc
	v_add_lshl_u32 v9, v9, v7, 2
	ds_bpermute_b32 v9, v9, v3
	s_lshr_b32 s6, s6, 1
	s_cmp_lt_u32 s6, s21
	s_waitcnt lgkmcnt(0)
	v_add_f32_e32 v3, v3, v9
	s_cbranch_scc0 .LBB15_12
.LBB15_13:
	v_cmp_gt_u32_e32 vcc, s21, v6
	s_and_b64 exec, exec, vcc
; %bb.14:
	ds_write_b32 v5, v3
.LBB15_15:
	s_or_b64 exec, exec, s[4:5]
	v_ashrrev_i32_e32 v5, 31, v4
	v_lshlrev_b64 v[6:7], 2, v[4:5]
	v_mov_b32_e32 v3, s19
	v_add_co_u32_e32 v6, vcc, s18, v6
	v_addc_co_u32_e32 v7, vcc, v3, v7, vcc
	s_waitcnt lgkmcnt(0)
	s_barrier
	global_load_dword v6, v[6:7], off
	v_lshl_add_u32 v0, v0, 2, 0
	ds_read_b32 v0, v0
	s_waitcnt vmcnt(0)
	v_div_scale_f32 v3, s[4:5], v6, v6, 1.0
	v_div_scale_f32 v7, vcc, 1.0, v6, 1.0
	v_rcp_f32_e32 v8, v3
	v_fma_f32 v9, -v3, v8, 1.0
	v_fmac_f32_e32 v8, v9, v8
	v_mul_f32_e32 v9, v7, v8
	v_fma_f32 v10, -v3, v9, v7
	v_fmac_f32_e32 v9, v10, v8
	v_fma_f32 v3, -v3, v9, v7
	v_div_fmas_f32 v7, v3, v8, v9
	v_lshlrev_b64 v[3:4], 1, v[4:5]
	v_cmp_eq_u32_e32 vcc, 0, v1
	v_div_fixup_f32 v5, v7, v6, 1.0
	s_and_saveexec_b64 s[4:5], vcc
	s_cbranch_execz .LBB15_17
; %bb.16:
	v_mov_b32_e32 v7, s11
	v_add_co_u32_e32 v6, vcc, s10, v3
	v_addc_co_u32_e32 v7, vcc, v7, v4, vcc
	s_waitcnt lgkmcnt(0)
	v_fma_mixlo_f16 v8, v0, v5, 0
	global_store_short v[6:7], v8, off
.LBB15_17:
	s_or_b64 exec, exec, s[4:5]
	s_and_saveexec_b64 s[4:5], s[0:1]
	s_cbranch_execz .LBB15_20
; %bb.18:
	v_mov_b32_e32 v6, s17
	v_add_co_u32_e32 v3, vcc, s16, v3
	v_addc_co_u32_e32 v4, vcc, v6, v4, vcc
	global_load_ushort v3, v[3:4], off
	v_mul_f32_e32 v4, v5, v5
	v_mul_f32_e32 v4, v5, v4
	s_mov_b64 s[0:1], 0
	v_mov_b32_e32 v7, s13
	v_mov_b32_e32 v8, s15
	;; [unrolled: 1-line block ×3, first 2 shown]
	s_waitcnt vmcnt(0)
	v_cvt_f32_f16_e32 v6, v3
.LBB15_19:                              ; =>This Inner Loop Header: Depth=1
	v_ashrrev_i32_e32 v3, 31, v2
	v_lshlrev_b64 v[10:11], 1, v[2:3]
	v_add_u32_e32 v1, s20, v1
	v_add_co_u32_e32 v12, vcc, s14, v10
	v_addc_co_u32_e32 v13, vcc, v8, v11, vcc
	global_load_ushort v3, v[12:13], off
	v_add_co_u32_e32 v12, vcc, s12, v10
	v_addc_co_u32_e32 v13, vcc, v7, v11, vcc
	global_load_ushort v12, v[12:13], off
	v_cmp_le_i32_e32 vcc, s3, v1
	s_or_b64 s[0:1], vcc, s[0:1]
	v_add_co_u32_e32 v10, vcc, s8, v10
	v_addc_co_u32_e32 v11, vcc, v9, v11, vcc
	v_add_u32_e32 v2, s2, v2
	s_waitcnt vmcnt(1)
	v_cvt_f32_f16_e32 v3, v3
	v_mul_f32_e32 v3, v4, v3
	s_waitcnt lgkmcnt(0)
	v_mul_f32_e32 v3, v0, v3
	s_waitcnt vmcnt(0)
	v_fma_mix_f32 v3, v5, v12, -v3 op_sel_hi:[0,1,0]
	v_fma_mixlo_f16 v3, v3, v6, 0
	global_store_short v[10:11], v3, off
	s_andn2_b64 exec, exec, s[0:1]
	s_cbranch_execnz .LBB15_19
.LBB15_20:
	s_endpgm
.LBB15_21:                              ;   in Loop: Header=BB15_22 Depth=1
	s_or_b64 exec, exec, s[4:5]
	s_lshr_b32 s4, s22, 1
	s_cmpk_lt_u32 s22, 0x80
	s_mov_b32 s22, s4
	s_waitcnt lgkmcnt(0)
	s_barrier
	s_cbranch_scc1 .LBB15_7
.LBB15_22:                              ; =>This Inner Loop Header: Depth=1
	v_cmp_gt_i32_e32 vcc, s22, v6
	s_and_saveexec_b64 s[4:5], vcc
	s_cbranch_execz .LBB15_21
; %bb.23:                               ;   in Loop: Header=BB15_22 Depth=1
	v_lshl_add_u32 v7, s22, 2, v5
	ds_read_b32 v8, v5
	ds_read_b32 v7, v7
	s_waitcnt lgkmcnt(0)
	v_add_f32_e32 v7, v8, v7
	ds_write_b32 v5, v7
	s_branch .LBB15_21
	.section	.rodata,"a",@progbits
	.p2align	6, 0x0
	.amdhsa_kernel _ZN2at6native12_GLOBAL__N_131weight_norm_bwd_last_dim_kernelIN3c104HalfEfEEvPT_S6_PKS5_S8_S8_PKT0_ii
		.amdhsa_group_segment_fixed_size 0
		.amdhsa_private_segment_fixed_size 0
		.amdhsa_kernarg_size 312
		.amdhsa_user_sgpr_count 6
		.amdhsa_user_sgpr_private_segment_buffer 1
		.amdhsa_user_sgpr_dispatch_ptr 0
		.amdhsa_user_sgpr_queue_ptr 0
		.amdhsa_user_sgpr_kernarg_segment_ptr 1
		.amdhsa_user_sgpr_dispatch_id 0
		.amdhsa_user_sgpr_flat_scratch_init 0
		.amdhsa_user_sgpr_private_segment_size 0
		.amdhsa_uses_dynamic_stack 0
		.amdhsa_system_sgpr_private_segment_wavefront_offset 0
		.amdhsa_system_sgpr_workgroup_id_x 1
		.amdhsa_system_sgpr_workgroup_id_y 0
		.amdhsa_system_sgpr_workgroup_id_z 0
		.amdhsa_system_sgpr_workgroup_info 0
		.amdhsa_system_vgpr_workitem_id 1
		.amdhsa_next_free_vgpr 14
		.amdhsa_next_free_sgpr 23
		.amdhsa_reserve_vcc 1
		.amdhsa_reserve_flat_scratch 0
		.amdhsa_float_round_mode_32 0
		.amdhsa_float_round_mode_16_64 0
		.amdhsa_float_denorm_mode_32 3
		.amdhsa_float_denorm_mode_16_64 3
		.amdhsa_dx10_clamp 1
		.amdhsa_ieee_mode 1
		.amdhsa_fp16_overflow 0
		.amdhsa_exception_fp_ieee_invalid_op 0
		.amdhsa_exception_fp_denorm_src 0
		.amdhsa_exception_fp_ieee_div_zero 0
		.amdhsa_exception_fp_ieee_overflow 0
		.amdhsa_exception_fp_ieee_underflow 0
		.amdhsa_exception_fp_ieee_inexact 0
		.amdhsa_exception_int_div_zero 0
	.end_amdhsa_kernel
	.section	.text._ZN2at6native12_GLOBAL__N_131weight_norm_bwd_last_dim_kernelIN3c104HalfEfEEvPT_S6_PKS5_S8_S8_PKT0_ii,"axG",@progbits,_ZN2at6native12_GLOBAL__N_131weight_norm_bwd_last_dim_kernelIN3c104HalfEfEEvPT_S6_PKS5_S8_S8_PKT0_ii,comdat
.Lfunc_end15:
	.size	_ZN2at6native12_GLOBAL__N_131weight_norm_bwd_last_dim_kernelIN3c104HalfEfEEvPT_S6_PKS5_S8_S8_PKT0_ii, .Lfunc_end15-_ZN2at6native12_GLOBAL__N_131weight_norm_bwd_last_dim_kernelIN3c104HalfEfEEvPT_S6_PKS5_S8_S8_PKT0_ii
                                        ; -- End function
	.set _ZN2at6native12_GLOBAL__N_131weight_norm_bwd_last_dim_kernelIN3c104HalfEfEEvPT_S6_PKS5_S8_S8_PKT0_ii.num_vgpr, 14
	.set _ZN2at6native12_GLOBAL__N_131weight_norm_bwd_last_dim_kernelIN3c104HalfEfEEvPT_S6_PKS5_S8_S8_PKT0_ii.num_agpr, 0
	.set _ZN2at6native12_GLOBAL__N_131weight_norm_bwd_last_dim_kernelIN3c104HalfEfEEvPT_S6_PKS5_S8_S8_PKT0_ii.numbered_sgpr, 23
	.set _ZN2at6native12_GLOBAL__N_131weight_norm_bwd_last_dim_kernelIN3c104HalfEfEEvPT_S6_PKS5_S8_S8_PKT0_ii.num_named_barrier, 0
	.set _ZN2at6native12_GLOBAL__N_131weight_norm_bwd_last_dim_kernelIN3c104HalfEfEEvPT_S6_PKS5_S8_S8_PKT0_ii.private_seg_size, 0
	.set _ZN2at6native12_GLOBAL__N_131weight_norm_bwd_last_dim_kernelIN3c104HalfEfEEvPT_S6_PKS5_S8_S8_PKT0_ii.uses_vcc, 1
	.set _ZN2at6native12_GLOBAL__N_131weight_norm_bwd_last_dim_kernelIN3c104HalfEfEEvPT_S6_PKS5_S8_S8_PKT0_ii.uses_flat_scratch, 0
	.set _ZN2at6native12_GLOBAL__N_131weight_norm_bwd_last_dim_kernelIN3c104HalfEfEEvPT_S6_PKS5_S8_S8_PKT0_ii.has_dyn_sized_stack, 0
	.set _ZN2at6native12_GLOBAL__N_131weight_norm_bwd_last_dim_kernelIN3c104HalfEfEEvPT_S6_PKS5_S8_S8_PKT0_ii.has_recursion, 0
	.set _ZN2at6native12_GLOBAL__N_131weight_norm_bwd_last_dim_kernelIN3c104HalfEfEEvPT_S6_PKS5_S8_S8_PKT0_ii.has_indirect_call, 0
	.section	.AMDGPU.csdata,"",@progbits
; Kernel info:
; codeLenInByte = 872
; TotalNumSgprs: 27
; NumVgprs: 14
; ScratchSize: 0
; MemoryBound: 0
; FloatMode: 240
; IeeeMode: 1
; LDSByteSize: 0 bytes/workgroup (compile time only)
; SGPRBlocks: 3
; VGPRBlocks: 3
; NumSGPRsForWavesPerEU: 27
; NumVGPRsForWavesPerEU: 14
; Occupancy: 10
; WaveLimiterHint : 0
; COMPUTE_PGM_RSRC2:SCRATCH_EN: 0
; COMPUTE_PGM_RSRC2:USER_SGPR: 6
; COMPUTE_PGM_RSRC2:TRAP_HANDLER: 0
; COMPUTE_PGM_RSRC2:TGID_X_EN: 1
; COMPUTE_PGM_RSRC2:TGID_Y_EN: 0
; COMPUTE_PGM_RSRC2:TGID_Z_EN: 0
; COMPUTE_PGM_RSRC2:TIDIG_COMP_CNT: 1
	.section	.AMDGPU.gpr_maximums,"",@progbits
	.set amdgpu.max_num_vgpr, 0
	.set amdgpu.max_num_agpr, 0
	.set amdgpu.max_num_sgpr, 0
	.section	.AMDGPU.csdata,"",@progbits
	.type	__hip_cuid_cee057d6280a1f3,@object ; @__hip_cuid_cee057d6280a1f3
	.section	.bss,"aw",@nobits
	.globl	__hip_cuid_cee057d6280a1f3
__hip_cuid_cee057d6280a1f3:
	.byte	0                               ; 0x0
	.size	__hip_cuid_cee057d6280a1f3, 1

	.ident	"AMD clang version 22.0.0git (https://github.com/RadeonOpenCompute/llvm-project roc-7.2.4 26084 f58b06dce1f9c15707c5f808fd002e18c2accf7e)"
	.section	".note.GNU-stack","",@progbits
	.addrsig
	.addrsig_sym __hip_cuid_cee057d6280a1f3
	.amdgpu_metadata
---
amdhsa.kernels:
  - .args:
      - .actual_access:  write_only
        .address_space:  global
        .offset:         0
        .size:           8
        .value_kind:     global_buffer
      - .actual_access:  write_only
        .address_space:  global
        .offset:         8
        .size:           8
        .value_kind:     global_buffer
      - .actual_access:  read_only
        .address_space:  global
        .offset:         16
        .size:           8
        .value_kind:     global_buffer
      - .actual_access:  read_only
        .address_space:  global
        .offset:         24
        .size:           8
        .value_kind:     global_buffer
      - .offset:         32
        .size:           4
        .value_kind:     by_value
      - .offset:         40
        .size:           4
        .value_kind:     hidden_block_count_x
      - .offset:         44
        .size:           4
        .value_kind:     hidden_block_count_y
      - .offset:         48
        .size:           4
        .value_kind:     hidden_block_count_z
      - .offset:         52
        .size:           2
        .value_kind:     hidden_group_size_x
      - .offset:         54
        .size:           2
        .value_kind:     hidden_group_size_y
      - .offset:         56
        .size:           2
        .value_kind:     hidden_group_size_z
      - .offset:         58
        .size:           2
        .value_kind:     hidden_remainder_x
      - .offset:         60
        .size:           2
        .value_kind:     hidden_remainder_y
      - .offset:         62
        .size:           2
        .value_kind:     hidden_remainder_z
      - .offset:         80
        .size:           8
        .value_kind:     hidden_global_offset_x
      - .offset:         88
        .size:           8
        .value_kind:     hidden_global_offset_y
      - .offset:         96
        .size:           8
        .value_kind:     hidden_global_offset_z
      - .offset:         104
        .size:           2
        .value_kind:     hidden_grid_dims
      - .offset:         160
        .size:           4
        .value_kind:     hidden_dynamic_lds_size
    .group_segment_fixed_size: 0
    .kernarg_segment_align: 8
    .kernarg_segment_size: 296
    .language:       OpenCL C
    .language_version:
      - 2
      - 0
    .max_flat_workgroup_size: 1024
    .name:           _ZN2at6native12_GLOBAL__N_132weight_norm_fwd_first_dim_kernelIddEEvPT_PT0_PKS3_S8_i
    .private_segment_fixed_size: 0
    .sgpr_count:     26
    .sgpr_spill_count: 0
    .symbol:         _ZN2at6native12_GLOBAL__N_132weight_norm_fwd_first_dim_kernelIddEEvPT_PT0_PKS3_S8_i.kd
    .uniform_work_group_size: 1
    .uses_dynamic_stack: false
    .vgpr_count:     14
    .vgpr_spill_count: 0
    .wavefront_size: 64
  - .args:
      - .actual_access:  write_only
        .address_space:  global
        .offset:         0
        .size:           8
        .value_kind:     global_buffer
      - .actual_access:  write_only
        .address_space:  global
        .offset:         8
        .size:           8
        .value_kind:     global_buffer
      - .actual_access:  read_only
        .address_space:  global
        .offset:         16
        .size:           8
        .value_kind:     global_buffer
      - .actual_access:  read_only
        .address_space:  global
        .offset:         24
        .size:           8
        .value_kind:     global_buffer
      - .offset:         32
        .size:           4
        .value_kind:     by_value
      - .offset:         40
        .size:           4
        .value_kind:     hidden_block_count_x
      - .offset:         44
        .size:           4
        .value_kind:     hidden_block_count_y
      - .offset:         48
        .size:           4
        .value_kind:     hidden_block_count_z
      - .offset:         52
        .size:           2
        .value_kind:     hidden_group_size_x
      - .offset:         54
        .size:           2
        .value_kind:     hidden_group_size_y
      - .offset:         56
        .size:           2
        .value_kind:     hidden_group_size_z
      - .offset:         58
        .size:           2
        .value_kind:     hidden_remainder_x
      - .offset:         60
        .size:           2
        .value_kind:     hidden_remainder_y
      - .offset:         62
        .size:           2
        .value_kind:     hidden_remainder_z
      - .offset:         80
        .size:           8
        .value_kind:     hidden_global_offset_x
      - .offset:         88
        .size:           8
        .value_kind:     hidden_global_offset_y
      - .offset:         96
        .size:           8
        .value_kind:     hidden_global_offset_z
      - .offset:         104
        .size:           2
        .value_kind:     hidden_grid_dims
      - .offset:         160
        .size:           4
        .value_kind:     hidden_dynamic_lds_size
    .group_segment_fixed_size: 0
    .kernarg_segment_align: 8
    .kernarg_segment_size: 296
    .language:       OpenCL C
    .language_version:
      - 2
      - 0
    .max_flat_workgroup_size: 1024
    .name:           _ZN2at6native12_GLOBAL__N_132weight_norm_fwd_first_dim_kernelIffEEvPT_PT0_PKS3_S8_i
    .private_segment_fixed_size: 0
    .sgpr_count:     24
    .sgpr_spill_count: 0
    .symbol:         _ZN2at6native12_GLOBAL__N_132weight_norm_fwd_first_dim_kernelIffEEvPT_PT0_PKS3_S8_i.kd
    .uniform_work_group_size: 1
    .uses_dynamic_stack: false
    .vgpr_count:     9
    .vgpr_spill_count: 0
    .wavefront_size: 64
  - .args:
      - .actual_access:  write_only
        .address_space:  global
        .offset:         0
        .size:           8
        .value_kind:     global_buffer
      - .actual_access:  write_only
        .address_space:  global
        .offset:         8
        .size:           8
        .value_kind:     global_buffer
      - .actual_access:  read_only
        .address_space:  global
        .offset:         16
        .size:           8
        .value_kind:     global_buffer
      - .actual_access:  read_only
        .address_space:  global
        .offset:         24
        .size:           8
        .value_kind:     global_buffer
      - .offset:         32
        .size:           4
        .value_kind:     by_value
      - .offset:         40
        .size:           4
        .value_kind:     hidden_block_count_x
      - .offset:         44
        .size:           4
        .value_kind:     hidden_block_count_y
      - .offset:         48
        .size:           4
        .value_kind:     hidden_block_count_z
      - .offset:         52
        .size:           2
        .value_kind:     hidden_group_size_x
      - .offset:         54
        .size:           2
        .value_kind:     hidden_group_size_y
      - .offset:         56
        .size:           2
        .value_kind:     hidden_group_size_z
      - .offset:         58
        .size:           2
        .value_kind:     hidden_remainder_x
      - .offset:         60
        .size:           2
        .value_kind:     hidden_remainder_y
      - .offset:         62
        .size:           2
        .value_kind:     hidden_remainder_z
      - .offset:         80
        .size:           8
        .value_kind:     hidden_global_offset_x
      - .offset:         88
        .size:           8
        .value_kind:     hidden_global_offset_y
      - .offset:         96
        .size:           8
        .value_kind:     hidden_global_offset_z
      - .offset:         104
        .size:           2
        .value_kind:     hidden_grid_dims
      - .offset:         160
        .size:           4
        .value_kind:     hidden_dynamic_lds_size
    .group_segment_fixed_size: 0
    .kernarg_segment_align: 8
    .kernarg_segment_size: 296
    .language:       OpenCL C
    .language_version:
      - 2
      - 0
    .max_flat_workgroup_size: 1024
    .name:           _ZN2at6native12_GLOBAL__N_132weight_norm_fwd_first_dim_kernelIN3c108BFloat16EfEEvPT_PT0_PKS5_SA_i
    .private_segment_fixed_size: 0
    .sgpr_count:     25
    .sgpr_spill_count: 0
    .symbol:         _ZN2at6native12_GLOBAL__N_132weight_norm_fwd_first_dim_kernelIN3c108BFloat16EfEEvPT_PT0_PKS5_SA_i.kd
    .uniform_work_group_size: 1
    .uses_dynamic_stack: false
    .vgpr_count:     17
    .vgpr_spill_count: 0
    .wavefront_size: 64
  - .args:
      - .actual_access:  write_only
        .address_space:  global
        .offset:         0
        .size:           8
        .value_kind:     global_buffer
      - .actual_access:  write_only
        .address_space:  global
        .offset:         8
        .size:           8
        .value_kind:     global_buffer
      - .actual_access:  read_only
        .address_space:  global
        .offset:         16
        .size:           8
        .value_kind:     global_buffer
      - .actual_access:  read_only
        .address_space:  global
        .offset:         24
        .size:           8
        .value_kind:     global_buffer
      - .offset:         32
        .size:           4
        .value_kind:     by_value
      - .offset:         40
        .size:           4
        .value_kind:     hidden_block_count_x
      - .offset:         44
        .size:           4
        .value_kind:     hidden_block_count_y
      - .offset:         48
        .size:           4
        .value_kind:     hidden_block_count_z
      - .offset:         52
        .size:           2
        .value_kind:     hidden_group_size_x
      - .offset:         54
        .size:           2
        .value_kind:     hidden_group_size_y
      - .offset:         56
        .size:           2
        .value_kind:     hidden_group_size_z
      - .offset:         58
        .size:           2
        .value_kind:     hidden_remainder_x
      - .offset:         60
        .size:           2
        .value_kind:     hidden_remainder_y
      - .offset:         62
        .size:           2
        .value_kind:     hidden_remainder_z
      - .offset:         80
        .size:           8
        .value_kind:     hidden_global_offset_x
      - .offset:         88
        .size:           8
        .value_kind:     hidden_global_offset_y
      - .offset:         96
        .size:           8
        .value_kind:     hidden_global_offset_z
      - .offset:         104
        .size:           2
        .value_kind:     hidden_grid_dims
      - .offset:         160
        .size:           4
        .value_kind:     hidden_dynamic_lds_size
    .group_segment_fixed_size: 0
    .kernarg_segment_align: 8
    .kernarg_segment_size: 296
    .language:       OpenCL C
    .language_version:
      - 2
      - 0
    .max_flat_workgroup_size: 1024
    .name:           _ZN2at6native12_GLOBAL__N_132weight_norm_fwd_first_dim_kernelIN3c104HalfEfEEvPT_PT0_PKS5_SA_i
    .private_segment_fixed_size: 0
    .sgpr_count:     25
    .sgpr_spill_count: 0
    .symbol:         _ZN2at6native12_GLOBAL__N_132weight_norm_fwd_first_dim_kernelIN3c104HalfEfEEvPT_PT0_PKS5_SA_i.kd
    .uniform_work_group_size: 1
    .uses_dynamic_stack: false
    .vgpr_count:     14
    .vgpr_spill_count: 0
    .wavefront_size: 64
  - .args:
      - .actual_access:  write_only
        .address_space:  global
        .offset:         0
        .size:           8
        .value_kind:     global_buffer
      - .actual_access:  write_only
        .address_space:  global
        .offset:         8
        .size:           8
        .value_kind:     global_buffer
      - .actual_access:  read_only
        .address_space:  global
        .offset:         16
        .size:           8
        .value_kind:     global_buffer
      - .actual_access:  read_only
        .address_space:  global
        .offset:         24
        .size:           8
        .value_kind:     global_buffer
      - .offset:         32
        .size:           4
        .value_kind:     by_value
      - .offset:         36
        .size:           4
        .value_kind:     by_value
      - .offset:         40
        .size:           4
        .value_kind:     hidden_block_count_x
      - .offset:         44
        .size:           4
        .value_kind:     hidden_block_count_y
      - .offset:         48
        .size:           4
        .value_kind:     hidden_block_count_z
      - .offset:         52
        .size:           2
        .value_kind:     hidden_group_size_x
      - .offset:         54
        .size:           2
        .value_kind:     hidden_group_size_y
      - .offset:         56
        .size:           2
        .value_kind:     hidden_group_size_z
      - .offset:         58
        .size:           2
        .value_kind:     hidden_remainder_x
      - .offset:         60
        .size:           2
        .value_kind:     hidden_remainder_y
      - .offset:         62
        .size:           2
        .value_kind:     hidden_remainder_z
      - .offset:         80
        .size:           8
        .value_kind:     hidden_global_offset_x
      - .offset:         88
        .size:           8
        .value_kind:     hidden_global_offset_y
      - .offset:         96
        .size:           8
        .value_kind:     hidden_global_offset_z
      - .offset:         104
        .size:           2
        .value_kind:     hidden_grid_dims
      - .offset:         160
        .size:           4
        .value_kind:     hidden_dynamic_lds_size
    .group_segment_fixed_size: 0
    .kernarg_segment_align: 8
    .kernarg_segment_size: 296
    .language:       OpenCL C
    .language_version:
      - 2
      - 0
    .max_flat_workgroup_size: 1024
    .name:           _ZN2at6native12_GLOBAL__N_131weight_norm_fwd_last_dim_kernelIddEEvPT_PT0_PKS3_S8_ii
    .private_segment_fixed_size: 0
    .sgpr_count:     24
    .sgpr_spill_count: 0
    .symbol:         _ZN2at6native12_GLOBAL__N_131weight_norm_fwd_last_dim_kernelIddEEvPT_PT0_PKS3_S8_ii.kd
    .uniform_work_group_size: 1
    .uses_dynamic_stack: false
    .vgpr_count:     16
    .vgpr_spill_count: 0
    .wavefront_size: 64
  - .args:
      - .actual_access:  write_only
        .address_space:  global
        .offset:         0
        .size:           8
        .value_kind:     global_buffer
      - .actual_access:  write_only
        .address_space:  global
        .offset:         8
        .size:           8
        .value_kind:     global_buffer
      - .actual_access:  read_only
        .address_space:  global
        .offset:         16
        .size:           8
        .value_kind:     global_buffer
      - .actual_access:  read_only
        .address_space:  global
        .offset:         24
        .size:           8
        .value_kind:     global_buffer
      - .offset:         32
        .size:           4
        .value_kind:     by_value
      - .offset:         36
        .size:           4
        .value_kind:     by_value
      - .offset:         40
        .size:           4
        .value_kind:     hidden_block_count_x
      - .offset:         44
        .size:           4
        .value_kind:     hidden_block_count_y
      - .offset:         48
        .size:           4
        .value_kind:     hidden_block_count_z
      - .offset:         52
        .size:           2
        .value_kind:     hidden_group_size_x
      - .offset:         54
        .size:           2
        .value_kind:     hidden_group_size_y
      - .offset:         56
        .size:           2
        .value_kind:     hidden_group_size_z
      - .offset:         58
        .size:           2
        .value_kind:     hidden_remainder_x
      - .offset:         60
        .size:           2
        .value_kind:     hidden_remainder_y
      - .offset:         62
        .size:           2
        .value_kind:     hidden_remainder_z
      - .offset:         80
        .size:           8
        .value_kind:     hidden_global_offset_x
      - .offset:         88
        .size:           8
        .value_kind:     hidden_global_offset_y
      - .offset:         96
        .size:           8
        .value_kind:     hidden_global_offset_z
      - .offset:         104
        .size:           2
        .value_kind:     hidden_grid_dims
      - .offset:         160
        .size:           4
        .value_kind:     hidden_dynamic_lds_size
    .group_segment_fixed_size: 0
    .kernarg_segment_align: 8
    .kernarg_segment_size: 296
    .language:       OpenCL C
    .language_version:
      - 2
      - 0
    .max_flat_workgroup_size: 1024
    .name:           _ZN2at6native12_GLOBAL__N_131weight_norm_fwd_last_dim_kernelIffEEvPT_PT0_PKS3_S8_ii
    .private_segment_fixed_size: 0
    .sgpr_count:     24
    .sgpr_spill_count: 0
    .symbol:         _ZN2at6native12_GLOBAL__N_131weight_norm_fwd_last_dim_kernelIffEEvPT_PT0_PKS3_S8_ii.kd
    .uniform_work_group_size: 1
    .uses_dynamic_stack: false
    .vgpr_count:     13
    .vgpr_spill_count: 0
    .wavefront_size: 64
  - .args:
      - .actual_access:  write_only
        .address_space:  global
        .offset:         0
        .size:           8
        .value_kind:     global_buffer
      - .actual_access:  write_only
        .address_space:  global
        .offset:         8
        .size:           8
        .value_kind:     global_buffer
      - .actual_access:  read_only
        .address_space:  global
        .offset:         16
        .size:           8
        .value_kind:     global_buffer
      - .actual_access:  read_only
        .address_space:  global
        .offset:         24
        .size:           8
        .value_kind:     global_buffer
      - .offset:         32
        .size:           4
        .value_kind:     by_value
      - .offset:         36
        .size:           4
        .value_kind:     by_value
      - .offset:         40
        .size:           4
        .value_kind:     hidden_block_count_x
      - .offset:         44
        .size:           4
        .value_kind:     hidden_block_count_y
      - .offset:         48
        .size:           4
        .value_kind:     hidden_block_count_z
      - .offset:         52
        .size:           2
        .value_kind:     hidden_group_size_x
      - .offset:         54
        .size:           2
        .value_kind:     hidden_group_size_y
      - .offset:         56
        .size:           2
        .value_kind:     hidden_group_size_z
      - .offset:         58
        .size:           2
        .value_kind:     hidden_remainder_x
      - .offset:         60
        .size:           2
        .value_kind:     hidden_remainder_y
      - .offset:         62
        .size:           2
        .value_kind:     hidden_remainder_z
      - .offset:         80
        .size:           8
        .value_kind:     hidden_global_offset_x
      - .offset:         88
        .size:           8
        .value_kind:     hidden_global_offset_y
      - .offset:         96
        .size:           8
        .value_kind:     hidden_global_offset_z
      - .offset:         104
        .size:           2
        .value_kind:     hidden_grid_dims
      - .offset:         160
        .size:           4
        .value_kind:     hidden_dynamic_lds_size
    .group_segment_fixed_size: 0
    .kernarg_segment_align: 8
    .kernarg_segment_size: 296
    .language:       OpenCL C
    .language_version:
      - 2
      - 0
    .max_flat_workgroup_size: 1024
    .name:           _ZN2at6native12_GLOBAL__N_131weight_norm_fwd_last_dim_kernelIN3c108BFloat16EfEEvPT_PT0_PKS5_SA_ii
    .private_segment_fixed_size: 0
    .sgpr_count:     24
    .sgpr_spill_count: 0
    .symbol:         _ZN2at6native12_GLOBAL__N_131weight_norm_fwd_last_dim_kernelIN3c108BFloat16EfEEvPT_PT0_PKS5_SA_ii.kd
    .uniform_work_group_size: 1
    .uses_dynamic_stack: false
    .vgpr_count:     13
    .vgpr_spill_count: 0
    .wavefront_size: 64
  - .args:
      - .actual_access:  write_only
        .address_space:  global
        .offset:         0
        .size:           8
        .value_kind:     global_buffer
      - .actual_access:  write_only
        .address_space:  global
        .offset:         8
        .size:           8
        .value_kind:     global_buffer
      - .actual_access:  read_only
        .address_space:  global
        .offset:         16
        .size:           8
        .value_kind:     global_buffer
      - .actual_access:  read_only
        .address_space:  global
        .offset:         24
        .size:           8
        .value_kind:     global_buffer
      - .offset:         32
        .size:           4
        .value_kind:     by_value
      - .offset:         36
        .size:           4
        .value_kind:     by_value
      - .offset:         40
        .size:           4
        .value_kind:     hidden_block_count_x
      - .offset:         44
        .size:           4
        .value_kind:     hidden_block_count_y
      - .offset:         48
        .size:           4
        .value_kind:     hidden_block_count_z
      - .offset:         52
        .size:           2
        .value_kind:     hidden_group_size_x
      - .offset:         54
        .size:           2
        .value_kind:     hidden_group_size_y
      - .offset:         56
        .size:           2
        .value_kind:     hidden_group_size_z
      - .offset:         58
        .size:           2
        .value_kind:     hidden_remainder_x
      - .offset:         60
        .size:           2
        .value_kind:     hidden_remainder_y
      - .offset:         62
        .size:           2
        .value_kind:     hidden_remainder_z
      - .offset:         80
        .size:           8
        .value_kind:     hidden_global_offset_x
      - .offset:         88
        .size:           8
        .value_kind:     hidden_global_offset_y
      - .offset:         96
        .size:           8
        .value_kind:     hidden_global_offset_z
      - .offset:         104
        .size:           2
        .value_kind:     hidden_grid_dims
      - .offset:         160
        .size:           4
        .value_kind:     hidden_dynamic_lds_size
    .group_segment_fixed_size: 0
    .kernarg_segment_align: 8
    .kernarg_segment_size: 296
    .language:       OpenCL C
    .language_version:
      - 2
      - 0
    .max_flat_workgroup_size: 1024
    .name:           _ZN2at6native12_GLOBAL__N_131weight_norm_fwd_last_dim_kernelIN3c104HalfEfEEvPT_PT0_PKS5_SA_ii
    .private_segment_fixed_size: 0
    .sgpr_count:     24
    .sgpr_spill_count: 0
    .symbol:         _ZN2at6native12_GLOBAL__N_131weight_norm_fwd_last_dim_kernelIN3c104HalfEfEEvPT_PT0_PKS5_SA_ii.kd
    .uniform_work_group_size: 1
    .uses_dynamic_stack: false
    .vgpr_count:     13
    .vgpr_spill_count: 0
    .wavefront_size: 64
  - .args:
      - .actual_access:  write_only
        .address_space:  global
        .offset:         0
        .size:           8
        .value_kind:     global_buffer
      - .actual_access:  write_only
        .address_space:  global
        .offset:         8
        .size:           8
        .value_kind:     global_buffer
      - .actual_access:  read_only
        .address_space:  global
        .offset:         16
        .size:           8
        .value_kind:     global_buffer
      - .actual_access:  read_only
        .address_space:  global
        .offset:         24
        .size:           8
        .value_kind:     global_buffer
      - .actual_access:  read_only
        .address_space:  global
        .offset:         32
        .size:           8
        .value_kind:     global_buffer
      - .actual_access:  read_only
        .address_space:  global
        .offset:         40
        .size:           8
        .value_kind:     global_buffer
      - .offset:         48
        .size:           4
        .value_kind:     by_value
      - .offset:         56
        .size:           4
        .value_kind:     hidden_block_count_x
      - .offset:         60
        .size:           4
        .value_kind:     hidden_block_count_y
      - .offset:         64
        .size:           4
        .value_kind:     hidden_block_count_z
      - .offset:         68
        .size:           2
        .value_kind:     hidden_group_size_x
      - .offset:         70
        .size:           2
        .value_kind:     hidden_group_size_y
      - .offset:         72
        .size:           2
        .value_kind:     hidden_group_size_z
      - .offset:         74
        .size:           2
        .value_kind:     hidden_remainder_x
      - .offset:         76
        .size:           2
        .value_kind:     hidden_remainder_y
      - .offset:         78
        .size:           2
        .value_kind:     hidden_remainder_z
      - .offset:         96
        .size:           8
        .value_kind:     hidden_global_offset_x
      - .offset:         104
        .size:           8
        .value_kind:     hidden_global_offset_y
      - .offset:         112
        .size:           8
        .value_kind:     hidden_global_offset_z
      - .offset:         120
        .size:           2
        .value_kind:     hidden_grid_dims
      - .offset:         176
        .size:           4
        .value_kind:     hidden_dynamic_lds_size
    .group_segment_fixed_size: 0
    .kernarg_segment_align: 8
    .kernarg_segment_size: 312
    .language:       OpenCL C
    .language_version:
      - 2
      - 0
    .max_flat_workgroup_size: 1024
    .name:           _ZN2at6native12_GLOBAL__N_132weight_norm_bwd_first_dim_kernelIddEEvPT_S4_PKS3_S6_S6_PKT0_i
    .private_segment_fixed_size: 0
    .sgpr_count:     30
    .sgpr_spill_count: 0
    .symbol:         _ZN2at6native12_GLOBAL__N_132weight_norm_bwd_first_dim_kernelIddEEvPT_S4_PKS3_S6_S6_PKT0_i.kd
    .uniform_work_group_size: 1
    .uses_dynamic_stack: false
    .vgpr_count:     19
    .vgpr_spill_count: 0
    .wavefront_size: 64
  - .args:
      - .actual_access:  write_only
        .address_space:  global
        .offset:         0
        .size:           8
        .value_kind:     global_buffer
      - .actual_access:  write_only
        .address_space:  global
        .offset:         8
        .size:           8
        .value_kind:     global_buffer
      - .actual_access:  read_only
        .address_space:  global
        .offset:         16
        .size:           8
        .value_kind:     global_buffer
      - .actual_access:  read_only
        .address_space:  global
        .offset:         24
        .size:           8
        .value_kind:     global_buffer
      - .actual_access:  read_only
        .address_space:  global
        .offset:         32
        .size:           8
        .value_kind:     global_buffer
      - .actual_access:  read_only
        .address_space:  global
        .offset:         40
        .size:           8
        .value_kind:     global_buffer
      - .offset:         48
        .size:           4
        .value_kind:     by_value
      - .offset:         56
        .size:           4
        .value_kind:     hidden_block_count_x
      - .offset:         60
        .size:           4
        .value_kind:     hidden_block_count_y
      - .offset:         64
        .size:           4
        .value_kind:     hidden_block_count_z
      - .offset:         68
        .size:           2
        .value_kind:     hidden_group_size_x
      - .offset:         70
        .size:           2
        .value_kind:     hidden_group_size_y
      - .offset:         72
        .size:           2
        .value_kind:     hidden_group_size_z
      - .offset:         74
        .size:           2
        .value_kind:     hidden_remainder_x
      - .offset:         76
        .size:           2
        .value_kind:     hidden_remainder_y
      - .offset:         78
        .size:           2
        .value_kind:     hidden_remainder_z
      - .offset:         96
        .size:           8
        .value_kind:     hidden_global_offset_x
      - .offset:         104
        .size:           8
        .value_kind:     hidden_global_offset_y
      - .offset:         112
        .size:           8
        .value_kind:     hidden_global_offset_z
      - .offset:         120
        .size:           2
        .value_kind:     hidden_grid_dims
      - .offset:         176
        .size:           4
        .value_kind:     hidden_dynamic_lds_size
    .group_segment_fixed_size: 0
    .kernarg_segment_align: 8
    .kernarg_segment_size: 312
    .language:       OpenCL C
    .language_version:
      - 2
      - 0
    .max_flat_workgroup_size: 1024
    .name:           _ZN2at6native12_GLOBAL__N_132weight_norm_bwd_first_dim_kernelIffEEvPT_S4_PKS3_S6_S6_PKT0_i
    .private_segment_fixed_size: 0
    .sgpr_count:     28
    .sgpr_spill_count: 0
    .symbol:         _ZN2at6native12_GLOBAL__N_132weight_norm_bwd_first_dim_kernelIffEEvPT_S4_PKS3_S6_S6_PKT0_i.kd
    .uniform_work_group_size: 1
    .uses_dynamic_stack: false
    .vgpr_count:     16
    .vgpr_spill_count: 0
    .wavefront_size: 64
  - .args:
      - .actual_access:  write_only
        .address_space:  global
        .offset:         0
        .size:           8
        .value_kind:     global_buffer
      - .actual_access:  write_only
        .address_space:  global
        .offset:         8
        .size:           8
        .value_kind:     global_buffer
      - .actual_access:  read_only
        .address_space:  global
        .offset:         16
        .size:           8
        .value_kind:     global_buffer
      - .actual_access:  read_only
        .address_space:  global
        .offset:         24
        .size:           8
        .value_kind:     global_buffer
      - .actual_access:  read_only
        .address_space:  global
        .offset:         32
        .size:           8
        .value_kind:     global_buffer
      - .actual_access:  read_only
        .address_space:  global
        .offset:         40
        .size:           8
        .value_kind:     global_buffer
      - .offset:         48
        .size:           4
        .value_kind:     by_value
      - .offset:         56
        .size:           4
        .value_kind:     hidden_block_count_x
      - .offset:         60
        .size:           4
        .value_kind:     hidden_block_count_y
      - .offset:         64
        .size:           4
        .value_kind:     hidden_block_count_z
      - .offset:         68
        .size:           2
        .value_kind:     hidden_group_size_x
      - .offset:         70
        .size:           2
        .value_kind:     hidden_group_size_y
      - .offset:         72
        .size:           2
        .value_kind:     hidden_group_size_z
      - .offset:         74
        .size:           2
        .value_kind:     hidden_remainder_x
      - .offset:         76
        .size:           2
        .value_kind:     hidden_remainder_y
      - .offset:         78
        .size:           2
        .value_kind:     hidden_remainder_z
      - .offset:         96
        .size:           8
        .value_kind:     hidden_global_offset_x
      - .offset:         104
        .size:           8
        .value_kind:     hidden_global_offset_y
      - .offset:         112
        .size:           8
        .value_kind:     hidden_global_offset_z
      - .offset:         120
        .size:           2
        .value_kind:     hidden_grid_dims
      - .offset:         176
        .size:           4
        .value_kind:     hidden_dynamic_lds_size
    .group_segment_fixed_size: 0
    .kernarg_segment_align: 8
    .kernarg_segment_size: 312
    .language:       OpenCL C
    .language_version:
      - 2
      - 0
    .max_flat_workgroup_size: 1024
    .name:           _ZN2at6native12_GLOBAL__N_132weight_norm_bwd_first_dim_kernelIN3c108BFloat16EfEEvPT_S6_PKS5_S8_S8_PKT0_i
    .private_segment_fixed_size: 0
    .sgpr_count:     29
    .sgpr_spill_count: 0
    .symbol:         _ZN2at6native12_GLOBAL__N_132weight_norm_bwd_first_dim_kernelIN3c108BFloat16EfEEvPT_S6_PKS5_S8_S8_PKT0_i.kd
    .uniform_work_group_size: 1
    .uses_dynamic_stack: false
    .vgpr_count:     20
    .vgpr_spill_count: 0
    .wavefront_size: 64
  - .args:
      - .actual_access:  write_only
        .address_space:  global
        .offset:         0
        .size:           8
        .value_kind:     global_buffer
      - .actual_access:  write_only
        .address_space:  global
        .offset:         8
        .size:           8
        .value_kind:     global_buffer
      - .actual_access:  read_only
        .address_space:  global
        .offset:         16
        .size:           8
        .value_kind:     global_buffer
      - .actual_access:  read_only
        .address_space:  global
        .offset:         24
        .size:           8
        .value_kind:     global_buffer
      - .actual_access:  read_only
        .address_space:  global
        .offset:         32
        .size:           8
        .value_kind:     global_buffer
      - .actual_access:  read_only
        .address_space:  global
        .offset:         40
        .size:           8
        .value_kind:     global_buffer
      - .offset:         48
        .size:           4
        .value_kind:     by_value
      - .offset:         56
        .size:           4
        .value_kind:     hidden_block_count_x
      - .offset:         60
        .size:           4
        .value_kind:     hidden_block_count_y
      - .offset:         64
        .size:           4
        .value_kind:     hidden_block_count_z
      - .offset:         68
        .size:           2
        .value_kind:     hidden_group_size_x
      - .offset:         70
        .size:           2
        .value_kind:     hidden_group_size_y
      - .offset:         72
        .size:           2
        .value_kind:     hidden_group_size_z
      - .offset:         74
        .size:           2
        .value_kind:     hidden_remainder_x
      - .offset:         76
        .size:           2
        .value_kind:     hidden_remainder_y
      - .offset:         78
        .size:           2
        .value_kind:     hidden_remainder_z
      - .offset:         96
        .size:           8
        .value_kind:     hidden_global_offset_x
      - .offset:         104
        .size:           8
        .value_kind:     hidden_global_offset_y
      - .offset:         112
        .size:           8
        .value_kind:     hidden_global_offset_z
      - .offset:         120
        .size:           2
        .value_kind:     hidden_grid_dims
      - .offset:         176
        .size:           4
        .value_kind:     hidden_dynamic_lds_size
    .group_segment_fixed_size: 0
    .kernarg_segment_align: 8
    .kernarg_segment_size: 312
    .language:       OpenCL C
    .language_version:
      - 2
      - 0
    .max_flat_workgroup_size: 1024
    .name:           _ZN2at6native12_GLOBAL__N_132weight_norm_bwd_first_dim_kernelIN3c104HalfEfEEvPT_S6_PKS5_S8_S8_PKT0_i
    .private_segment_fixed_size: 0
    .sgpr_count:     29
    .sgpr_spill_count: 0
    .symbol:         _ZN2at6native12_GLOBAL__N_132weight_norm_bwd_first_dim_kernelIN3c104HalfEfEEvPT_S6_PKS5_S8_S8_PKT0_i.kd
    .uniform_work_group_size: 1
    .uses_dynamic_stack: false
    .vgpr_count:     17
    .vgpr_spill_count: 0
    .wavefront_size: 64
  - .args:
      - .actual_access:  write_only
        .address_space:  global
        .offset:         0
        .size:           8
        .value_kind:     global_buffer
      - .actual_access:  write_only
        .address_space:  global
        .offset:         8
        .size:           8
        .value_kind:     global_buffer
      - .actual_access:  read_only
        .address_space:  global
        .offset:         16
        .size:           8
        .value_kind:     global_buffer
      - .actual_access:  read_only
        .address_space:  global
        .offset:         24
        .size:           8
        .value_kind:     global_buffer
      - .actual_access:  read_only
        .address_space:  global
        .offset:         32
        .size:           8
        .value_kind:     global_buffer
      - .actual_access:  read_only
        .address_space:  global
        .offset:         40
        .size:           8
        .value_kind:     global_buffer
      - .offset:         48
        .size:           4
        .value_kind:     by_value
      - .offset:         52
        .size:           4
        .value_kind:     by_value
      - .offset:         56
        .size:           4
        .value_kind:     hidden_block_count_x
      - .offset:         60
        .size:           4
        .value_kind:     hidden_block_count_y
      - .offset:         64
        .size:           4
        .value_kind:     hidden_block_count_z
      - .offset:         68
        .size:           2
        .value_kind:     hidden_group_size_x
      - .offset:         70
        .size:           2
        .value_kind:     hidden_group_size_y
      - .offset:         72
        .size:           2
        .value_kind:     hidden_group_size_z
      - .offset:         74
        .size:           2
        .value_kind:     hidden_remainder_x
      - .offset:         76
        .size:           2
        .value_kind:     hidden_remainder_y
      - .offset:         78
        .size:           2
        .value_kind:     hidden_remainder_z
      - .offset:         96
        .size:           8
        .value_kind:     hidden_global_offset_x
      - .offset:         104
        .size:           8
        .value_kind:     hidden_global_offset_y
      - .offset:         112
        .size:           8
        .value_kind:     hidden_global_offset_z
      - .offset:         120
        .size:           2
        .value_kind:     hidden_grid_dims
      - .offset:         176
        .size:           4
        .value_kind:     hidden_dynamic_lds_size
    .group_segment_fixed_size: 0
    .kernarg_segment_align: 8
    .kernarg_segment_size: 312
    .language:       OpenCL C
    .language_version:
      - 2
      - 0
    .max_flat_workgroup_size: 1024
    .name:           _ZN2at6native12_GLOBAL__N_131weight_norm_bwd_last_dim_kernelIddEEvPT_S4_PKS3_S6_S6_PKT0_ii
    .private_segment_fixed_size: 0
    .sgpr_count:     27
    .sgpr_spill_count: 0
    .symbol:         _ZN2at6native12_GLOBAL__N_131weight_norm_bwd_last_dim_kernelIddEEvPT_S4_PKS3_S6_S6_PKT0_ii.kd
    .uniform_work_group_size: 1
    .uses_dynamic_stack: false
    .vgpr_count:     20
    .vgpr_spill_count: 0
    .wavefront_size: 64
  - .args:
      - .actual_access:  write_only
        .address_space:  global
        .offset:         0
        .size:           8
        .value_kind:     global_buffer
      - .actual_access:  write_only
        .address_space:  global
        .offset:         8
        .size:           8
        .value_kind:     global_buffer
      - .actual_access:  read_only
        .address_space:  global
        .offset:         16
        .size:           8
        .value_kind:     global_buffer
      - .actual_access:  read_only
        .address_space:  global
        .offset:         24
        .size:           8
        .value_kind:     global_buffer
      - .actual_access:  read_only
        .address_space:  global
        .offset:         32
        .size:           8
        .value_kind:     global_buffer
      - .actual_access:  read_only
        .address_space:  global
        .offset:         40
        .size:           8
        .value_kind:     global_buffer
      - .offset:         48
        .size:           4
        .value_kind:     by_value
      - .offset:         52
        .size:           4
        .value_kind:     by_value
      - .offset:         56
        .size:           4
        .value_kind:     hidden_block_count_x
      - .offset:         60
        .size:           4
        .value_kind:     hidden_block_count_y
      - .offset:         64
        .size:           4
        .value_kind:     hidden_block_count_z
      - .offset:         68
        .size:           2
        .value_kind:     hidden_group_size_x
      - .offset:         70
        .size:           2
        .value_kind:     hidden_group_size_y
      - .offset:         72
        .size:           2
        .value_kind:     hidden_group_size_z
      - .offset:         74
        .size:           2
        .value_kind:     hidden_remainder_x
      - .offset:         76
        .size:           2
        .value_kind:     hidden_remainder_y
      - .offset:         78
        .size:           2
        .value_kind:     hidden_remainder_z
      - .offset:         96
        .size:           8
        .value_kind:     hidden_global_offset_x
      - .offset:         104
        .size:           8
        .value_kind:     hidden_global_offset_y
      - .offset:         112
        .size:           8
        .value_kind:     hidden_global_offset_z
      - .offset:         120
        .size:           2
        .value_kind:     hidden_grid_dims
      - .offset:         176
        .size:           4
        .value_kind:     hidden_dynamic_lds_size
    .group_segment_fixed_size: 0
    .kernarg_segment_align: 8
    .kernarg_segment_size: 312
    .language:       OpenCL C
    .language_version:
      - 2
      - 0
    .max_flat_workgroup_size: 1024
    .name:           _ZN2at6native12_GLOBAL__N_131weight_norm_bwd_last_dim_kernelIffEEvPT_S4_PKS3_S6_S6_PKT0_ii
    .private_segment_fixed_size: 0
    .sgpr_count:     27
    .sgpr_spill_count: 0
    .symbol:         _ZN2at6native12_GLOBAL__N_131weight_norm_bwd_last_dim_kernelIffEEvPT_S4_PKS3_S6_S6_PKT0_ii.kd
    .uniform_work_group_size: 1
    .uses_dynamic_stack: false
    .vgpr_count:     14
    .vgpr_spill_count: 0
    .wavefront_size: 64
  - .args:
      - .actual_access:  write_only
        .address_space:  global
        .offset:         0
        .size:           8
        .value_kind:     global_buffer
      - .actual_access:  write_only
        .address_space:  global
        .offset:         8
        .size:           8
        .value_kind:     global_buffer
      - .actual_access:  read_only
        .address_space:  global
        .offset:         16
        .size:           8
        .value_kind:     global_buffer
      - .actual_access:  read_only
        .address_space:  global
        .offset:         24
        .size:           8
        .value_kind:     global_buffer
      - .actual_access:  read_only
        .address_space:  global
        .offset:         32
        .size:           8
        .value_kind:     global_buffer
      - .actual_access:  read_only
        .address_space:  global
        .offset:         40
        .size:           8
        .value_kind:     global_buffer
      - .offset:         48
        .size:           4
        .value_kind:     by_value
      - .offset:         52
        .size:           4
        .value_kind:     by_value
      - .offset:         56
        .size:           4
        .value_kind:     hidden_block_count_x
      - .offset:         60
        .size:           4
        .value_kind:     hidden_block_count_y
      - .offset:         64
        .size:           4
        .value_kind:     hidden_block_count_z
      - .offset:         68
        .size:           2
        .value_kind:     hidden_group_size_x
      - .offset:         70
        .size:           2
        .value_kind:     hidden_group_size_y
      - .offset:         72
        .size:           2
        .value_kind:     hidden_group_size_z
      - .offset:         74
        .size:           2
        .value_kind:     hidden_remainder_x
      - .offset:         76
        .size:           2
        .value_kind:     hidden_remainder_y
      - .offset:         78
        .size:           2
        .value_kind:     hidden_remainder_z
      - .offset:         96
        .size:           8
        .value_kind:     hidden_global_offset_x
      - .offset:         104
        .size:           8
        .value_kind:     hidden_global_offset_y
      - .offset:         112
        .size:           8
        .value_kind:     hidden_global_offset_z
      - .offset:         120
        .size:           2
        .value_kind:     hidden_grid_dims
      - .offset:         176
        .size:           4
        .value_kind:     hidden_dynamic_lds_size
    .group_segment_fixed_size: 0
    .kernarg_segment_align: 8
    .kernarg_segment_size: 312
    .language:       OpenCL C
    .language_version:
      - 2
      - 0
    .max_flat_workgroup_size: 1024
    .name:           _ZN2at6native12_GLOBAL__N_131weight_norm_bwd_last_dim_kernelIN3c108BFloat16EfEEvPT_S6_PKS5_S8_S8_PKT0_ii
    .private_segment_fixed_size: 0
    .sgpr_count:     27
    .sgpr_spill_count: 0
    .symbol:         _ZN2at6native12_GLOBAL__N_131weight_norm_bwd_last_dim_kernelIN3c108BFloat16EfEEvPT_S6_PKS5_S8_S8_PKT0_ii.kd
    .uniform_work_group_size: 1
    .uses_dynamic_stack: false
    .vgpr_count:     18
    .vgpr_spill_count: 0
    .wavefront_size: 64
  - .args:
      - .actual_access:  write_only
        .address_space:  global
        .offset:         0
        .size:           8
        .value_kind:     global_buffer
      - .actual_access:  write_only
        .address_space:  global
        .offset:         8
        .size:           8
        .value_kind:     global_buffer
      - .actual_access:  read_only
        .address_space:  global
        .offset:         16
        .size:           8
        .value_kind:     global_buffer
      - .actual_access:  read_only
        .address_space:  global
        .offset:         24
        .size:           8
        .value_kind:     global_buffer
      - .actual_access:  read_only
        .address_space:  global
        .offset:         32
        .size:           8
        .value_kind:     global_buffer
      - .actual_access:  read_only
        .address_space:  global
        .offset:         40
        .size:           8
        .value_kind:     global_buffer
      - .offset:         48
        .size:           4
        .value_kind:     by_value
      - .offset:         52
        .size:           4
        .value_kind:     by_value
      - .offset:         56
        .size:           4
        .value_kind:     hidden_block_count_x
      - .offset:         60
        .size:           4
        .value_kind:     hidden_block_count_y
      - .offset:         64
        .size:           4
        .value_kind:     hidden_block_count_z
      - .offset:         68
        .size:           2
        .value_kind:     hidden_group_size_x
      - .offset:         70
        .size:           2
        .value_kind:     hidden_group_size_y
      - .offset:         72
        .size:           2
        .value_kind:     hidden_group_size_z
      - .offset:         74
        .size:           2
        .value_kind:     hidden_remainder_x
      - .offset:         76
        .size:           2
        .value_kind:     hidden_remainder_y
      - .offset:         78
        .size:           2
        .value_kind:     hidden_remainder_z
      - .offset:         96
        .size:           8
        .value_kind:     hidden_global_offset_x
      - .offset:         104
        .size:           8
        .value_kind:     hidden_global_offset_y
      - .offset:         112
        .size:           8
        .value_kind:     hidden_global_offset_z
      - .offset:         120
        .size:           2
        .value_kind:     hidden_grid_dims
      - .offset:         176
        .size:           4
        .value_kind:     hidden_dynamic_lds_size
    .group_segment_fixed_size: 0
    .kernarg_segment_align: 8
    .kernarg_segment_size: 312
    .language:       OpenCL C
    .language_version:
      - 2
      - 0
    .max_flat_workgroup_size: 1024
    .name:           _ZN2at6native12_GLOBAL__N_131weight_norm_bwd_last_dim_kernelIN3c104HalfEfEEvPT_S6_PKS5_S8_S8_PKT0_ii
    .private_segment_fixed_size: 0
    .sgpr_count:     27
    .sgpr_spill_count: 0
    .symbol:         _ZN2at6native12_GLOBAL__N_131weight_norm_bwd_last_dim_kernelIN3c104HalfEfEEvPT_S6_PKS5_S8_S8_PKT0_ii.kd
    .uniform_work_group_size: 1
    .uses_dynamic_stack: false
    .vgpr_count:     14
    .vgpr_spill_count: 0
    .wavefront_size: 64
amdhsa.target:   amdgcn-amd-amdhsa--gfx906
amdhsa.version:
  - 1
  - 2
...

	.end_amdgpu_metadata
